;; amdgpu-corpus repo=ROCm/rocFFT kind=compiled arch=gfx906 opt=O3
	.text
	.amdgcn_target "amdgcn-amd-amdhsa--gfx906"
	.amdhsa_code_object_version 6
	.protected	bluestein_single_back_len264_dim1_dp_op_CI_CI ; -- Begin function bluestein_single_back_len264_dim1_dp_op_CI_CI
	.globl	bluestein_single_back_len264_dim1_dp_op_CI_CI
	.p2align	8
	.type	bluestein_single_back_len264_dim1_dp_op_CI_CI,@function
bluestein_single_back_len264_dim1_dp_op_CI_CI: ; @bluestein_single_back_len264_dim1_dp_op_CI_CI
; %bb.0:
	v_mul_u32_u24_e32 v1, 0x7c2, v0
	s_mov_b64 s[50:51], s[2:3]
	s_load_dwordx4 s[16:19], s[4:5], 0x28
	v_lshrrev_b32_e32 v1, 16, v1
	s_mov_b64 s[48:49], s[0:1]
	v_mad_u64_u32 v[140:141], s[0:1], s6, 7, v[1:2]
	v_mov_b32_e32 v141, 0
	s_add_u32 s48, s48, s7
	s_waitcnt lgkmcnt(0)
	v_cmp_gt_u64_e32 vcc, s[16:17], v[140:141]
	s_addc_u32 s49, s49, 0
	s_and_saveexec_b64 s[0:1], vcc
	s_cbranch_execz .LBB0_18
; %bb.1:
	s_load_dwordx4 s[0:3], s[4:5], 0x18
	s_load_dwordx4 s[12:15], s[4:5], 0x0
	v_mul_lo_u16_e32 v1, 33, v1
	v_sub_u16_e32 v253, v0, v1
	v_lshlrev_b32_e32 v155, 4, v253
	s_waitcnt lgkmcnt(0)
	s_load_dwordx4 s[8:11], s[0:1], 0x0
                                        ; implicit-def: $vgpr88_vgpr89
	s_waitcnt lgkmcnt(0)
	v_mad_u64_u32 v[0:1], s[0:1], s10, v140, 0
	v_mad_u64_u32 v[2:3], s[0:1], s8, v253, 0
	;; [unrolled: 1-line block ×4, first 2 shown]
	v_mov_b32_e32 v1, v4
	v_lshlrev_b64 v[0:1], 4, v[0:1]
	v_mov_b32_e32 v6, s19
	v_mov_b32_e32 v3, v5
	v_add_co_u32_e32 v4, vcc, s18, v0
	v_addc_co_u32_e32 v5, vcc, v6, v1, vcc
	v_lshlrev_b64 v[0:1], 4, v[2:3]
	s_mul_i32 s0, s9, 0x210
	v_add_co_u32_e32 v0, vcc, v4, v0
	s_mul_hi_u32 s1, s8, 0x210
	v_addc_co_u32_e32 v1, vcc, v5, v1, vcc
	s_add_i32 s0, s1, s0
	s_mul_i32 s1, s8, 0x210
	global_load_dwordx4 v[32:35], v[0:1], off
	v_mov_b32_e32 v2, s0
	v_add_co_u32_e32 v0, vcc, s1, v0
	v_addc_co_u32_e32 v1, vcc, v1, v2, vcc
	v_mov_b32_e32 v3, s0
	v_add_co_u32_e32 v2, vcc, s1, v0
	v_addc_co_u32_e32 v3, vcc, v1, v3, vcc
	global_load_dwordx4 v[28:31], v155, s[12:13]
	global_load_dwordx4 v[24:27], v155, s[12:13] offset:528
	global_load_dwordx4 v[36:39], v[0:1], off
	global_load_dwordx4 v[40:43], v[2:3], off
	v_mov_b32_e32 v0, s0
	v_add_co_u32_e32 v8, vcc, s1, v2
	v_addc_co_u32_e32 v9, vcc, v3, v0, vcc
	global_load_dwordx4 v[0:3], v155, s[12:13] offset:1056
	global_load_dwordx4 v[4:7], v155, s[12:13] offset:1584
	v_mov_b32_e32 v11, s0
	v_add_co_u32_e32 v10, vcc, s1, v8
	v_addc_co_u32_e32 v11, vcc, v9, v11, vcc
	global_load_dwordx4 v[44:47], v[8:9], off
	global_load_dwordx4 v[48:51], v[10:11], off
	v_mov_b32_e32 v8, s0
	v_add_co_u32_e32 v16, vcc, s1, v10
	v_addc_co_u32_e32 v17, vcc, v11, v8, vcc
	global_load_dwordx4 v[52:55], v[16:17], off
	global_load_dwordx4 v[12:15], v155, s[12:13] offset:2112
	global_load_dwordx4 v[8:11], v155, s[12:13] offset:2640
	v_mov_b32_e32 v18, s0
	v_add_co_u32_e32 v16, vcc, s1, v16
	v_addc_co_u32_e32 v17, vcc, v17, v18, vcc
	global_load_dwordx4 v[56:59], v[16:17], off
	v_add_co_u32_e32 v64, vcc, s1, v16
	v_addc_co_u32_e32 v65, vcc, v17, v18, vcc
	global_load_dwordx4 v[16:19], v155, s[12:13] offset:3168
	global_load_dwordx4 v[20:23], v155, s[12:13] offset:3696
	global_load_dwordx4 v[60:63], v[64:65], off
	s_mov_b32 s0, 0x24924925
	v_mul_hi_u32 v64, v140, s0
	s_load_dwordx2 s[6:7], s[4:5], 0x38
	s_load_dwordx4 s[8:11], s[2:3], 0x0
	s_mov_b32 s0, 0x667f3bcd
	s_mov_b32 s1, 0xbfe6a09e
	v_sub_u32_e32 v65, v140, v64
	v_lshrrev_b32_e32 v65, 1, v65
	v_add_u32_e32 v64, v65, v64
	v_lshrrev_b32_e32 v64, 2, v64
	v_mul_lo_u32 v64, v64, 7
	s_mov_b32 s3, 0x3fe6a09e
	s_mov_b32 s2, s0
	v_sub_u32_e32 v64, v140, v64
	v_mul_u32_u24_e32 v64, 0x108, v64
	v_lshlrev_b32_e32 v153, 4, v64
	v_add_u32_e32 v254, v155, v153
	s_waitcnt vmcnt(14)
	v_mul_f64 v[64:65], v[34:35], v[30:31]
	v_mul_f64 v[66:67], v[32:33], v[30:31]
	s_waitcnt vmcnt(12)
	v_mul_f64 v[68:69], v[38:39], v[26:27]
	v_mul_f64 v[70:71], v[36:37], v[26:27]
	;; [unrolled: 3-line block ×3, first 2 shown]
	v_fma_f64 v[32:33], v[32:33], v[28:29], v[64:65]
	v_fma_f64 v[34:35], v[34:35], v[28:29], -v[66:67]
	v_fma_f64 v[36:37], v[36:37], v[24:25], v[68:69]
	v_fma_f64 v[38:39], v[38:39], v[24:25], -v[70:71]
	s_waitcnt vmcnt(8)
	v_mul_f64 v[76:77], v[46:47], v[6:7]
	v_mul_f64 v[78:79], v[44:45], v[6:7]
	v_fma_f64 v[40:41], v[40:41], v[0:1], v[72:73]
	v_fma_f64 v[42:43], v[42:43], v[0:1], -v[74:75]
	s_waitcnt vmcnt(5)
	v_mul_f64 v[80:81], v[50:51], v[14:15]
	v_mul_f64 v[82:83], v[48:49], v[14:15]
	s_waitcnt vmcnt(4)
	v_mul_f64 v[84:85], v[54:55], v[10:11]
	v_mul_f64 v[64:65], v[52:53], v[10:11]
	v_fma_f64 v[44:45], v[44:45], v[4:5], v[76:77]
	v_fma_f64 v[46:47], v[46:47], v[4:5], -v[78:79]
	v_fma_f64 v[48:49], v[48:49], v[12:13], v[80:81]
	v_fma_f64 v[50:51], v[50:51], v[12:13], -v[82:83]
	s_waitcnt vmcnt(2)
	v_mul_f64 v[66:67], v[58:59], v[18:19]
	v_mul_f64 v[68:69], v[56:57], v[18:19]
	s_waitcnt vmcnt(0)
	v_mul_f64 v[70:71], v[62:63], v[22:23]
	v_mul_f64 v[72:73], v[60:61], v[22:23]
	v_fma_f64 v[52:53], v[52:53], v[8:9], v[84:85]
	v_fma_f64 v[54:55], v[54:55], v[8:9], -v[64:65]
	v_fma_f64 v[56:57], v[56:57], v[16:17], v[66:67]
	v_fma_f64 v[58:59], v[58:59], v[16:17], -v[68:69]
	;; [unrolled: 2-line block ×3, first 2 shown]
	ds_write_b128 v254, v[32:35]
	ds_write_b128 v254, v[36:39] offset:528
	ds_write_b128 v254, v[40:43] offset:1056
	;; [unrolled: 1-line block ×7, first 2 shown]
	s_waitcnt lgkmcnt(0)
	s_barrier
	ds_read_b128 v[32:35], v254
	ds_read_b128 v[36:39], v254 offset:528
	ds_read_b128 v[40:43], v254 offset:2112
	;; [unrolled: 1-line block ×7, first 2 shown]
	s_waitcnt lgkmcnt(5)
	v_add_f64 v[40:41], v[32:33], -v[40:41]
	v_add_f64 v[42:43], v[34:35], -v[42:43]
	s_waitcnt lgkmcnt(2)
	v_add_f64 v[52:53], v[44:45], -v[52:53]
	v_add_f64 v[54:55], v[46:47], -v[54:55]
	;; [unrolled: 3-line block ×4, first 2 shown]
	v_fma_f64 v[32:33], v[32:33], 2.0, -v[40:41]
	v_fma_f64 v[34:35], v[34:35], 2.0, -v[42:43]
	;; [unrolled: 1-line block ×8, first 2 shown]
	v_add_f64 v[64:65], v[40:41], -v[54:55]
	v_add_f64 v[66:67], v[42:43], v[52:53]
	v_add_f64 v[52:53], v[56:57], -v[62:63]
	v_add_f64 v[54:55], v[58:59], v[60:61]
	v_add_f64 v[60:61], v[32:33], -v[44:45]
	v_add_f64 v[62:63], v[34:35], -v[46:47]
	;; [unrolled: 1-line block ×4, first 2 shown]
	v_fma_f64 v[68:69], v[40:41], 2.0, -v[64:65]
	v_fma_f64 v[70:71], v[42:43], 2.0, -v[66:67]
	;; [unrolled: 1-line block ×8, first 2 shown]
	v_fma_f64 v[48:49], v[52:53], s[2:3], v[64:65]
	v_fma_f64 v[50:51], v[54:55], s[2:3], v[66:67]
	;; [unrolled: 1-line block ×4, first 2 shown]
	s_barrier
	v_add_f64 v[32:33], v[56:57], -v[32:33]
	v_add_f64 v[34:35], v[58:59], -v[34:35]
	v_fma_f64 v[48:49], v[54:55], s[0:1], v[48:49]
	v_fma_f64 v[50:51], v[52:53], s[2:3], v[50:51]
	;; [unrolled: 1-line block ×4, first 2 shown]
	v_add_f64 v[40:41], v[60:61], -v[46:47]
	v_add_f64 v[42:43], v[62:63], v[44:45]
	v_fma_f64 v[44:45], v[56:57], 2.0, -v[32:33]
	v_fma_f64 v[46:47], v[58:59], 2.0, -v[34:35]
	v_cmp_gt_u16_e64 s[0:1], 22, v253
	v_fma_f64 v[52:53], v[68:69], 2.0, -v[36:37]
	v_fma_f64 v[54:55], v[70:71], 2.0, -v[38:39]
	;; [unrolled: 1-line block ×6, first 2 shown]
	v_lshlrev_b16_e32 v64, 3, v253
	v_lshl_add_u32 v255, v64, 4, v153
	ds_write_b128 v255, v[44:47]
	ds_write_b128 v255, v[52:55] offset:16
	ds_write_b128 v255, v[56:59] offset:32
	;; [unrolled: 1-line block ×7, first 2 shown]
	s_waitcnt lgkmcnt(0)
	s_barrier
	ds_read_b128 v[68:71], v254
	ds_read_b128 v[64:67], v254 offset:528
	ds_read_b128 v[80:83], v254 offset:1408
	;; [unrolled: 1-line block ×5, first 2 shown]
	s_and_saveexec_b64 s[2:3], s[0:1]
	s_cbranch_execz .LBB0_3
; %bb.2:
	ds_read_b128 v[40:43], v254 offset:1056
	ds_read_b128 v[48:51], v254 offset:2464
	;; [unrolled: 1-line block ×3, first 2 shown]
.LBB0_3:
	s_or_b64 exec, exec, s[2:3]
	v_add_u32_e32 v92, 33, v253
	v_and_b32_e32 v93, 7, v253
	v_and_b32_e32 v94, 7, v92
	v_lshlrev_b32_e32 v44, 5, v93
	v_lshlrev_b32_e32 v56, 5, v94
	v_add_co_u32_e32 v132, vcc, 0x42, v253
	global_load_dwordx4 v[32:35], v44, s[14:15] offset:16
	global_load_dwordx4 v[36:39], v44, s[14:15]
	s_nop 0
	global_load_dwordx4 v[44:47], v56, s[14:15] offset:16
	global_load_dwordx4 v[52:55], v56, s[14:15]
	v_and_b32_e32 v56, 7, v132
	buffer_store_dword v56, off, s[48:51], 0 offset:4 ; 4-byte Folded Spill
	v_lshlrev_b32_e32 v95, 5, v56
	global_load_dwordx4 v[60:63], v95, s[14:15]
	global_load_dwordx4 v[56:59], v95, s[14:15] offset:16
	v_lshrrev_b32_e32 v95, 3, v253
	v_lshrrev_b32_e32 v92, 3, v92
	v_mul_u32_u24_e32 v95, 24, v95
	v_mul_u32_u24_e32 v92, 24, v92
	v_or_b32_e32 v93, v95, v93
	v_or_b32_e32 v92, v92, v94
	v_lshl_add_u32 v133, v93, 4, v153
	v_lshl_add_u32 v156, v92, 4, v153
	s_mov_b32 s2, 0xe8584caa
	s_mov_b32 s3, 0x3febb67a
	;; [unrolled: 1-line block ×4, first 2 shown]
	s_waitcnt vmcnt(0) lgkmcnt(0)
	s_barrier
	v_mul_f64 v[96:97], v[86:87], v[34:35]
	v_mul_f64 v[92:93], v[82:83], v[38:39]
	;; [unrolled: 1-line block ×12, first 2 shown]
	v_fma_f64 v[80:81], v[80:81], v[36:37], -v[92:93]
	v_fma_f64 v[82:83], v[82:83], v[36:37], v[94:95]
	v_fma_f64 v[84:85], v[84:85], v[32:33], -v[96:97]
	v_fma_f64 v[86:87], v[86:87], v[32:33], v[98:99]
	;; [unrolled: 2-line block ×6, first 2 shown]
	v_add_f64 v[94:95], v[80:81], v[84:85]
	v_add_f64 v[98:99], v[82:83], -v[86:87]
	v_add_f64 v[96:97], v[70:71], v[82:83]
	v_add_f64 v[82:83], v[82:83], v[86:87]
	v_add_f64 v[102:103], v[72:73], v[76:77]
	v_add_f64 v[114:115], v[74:75], -v[78:79]
	v_add_f64 v[108:109], v[66:67], v[74:75]
	v_add_f64 v[74:75], v[74:75], v[78:79]
	;; [unrolled: 4-line block ×3, first 2 shown]
	v_add_f64 v[92:93], v[68:69], v[80:81]
	v_add_f64 v[80:81], v[80:81], -v[84:85]
	v_add_f64 v[100:101], v[64:65], v[72:73]
	v_add_f64 v[72:73], v[72:73], -v[76:77]
	;; [unrolled: 2-line block ×3, first 2 shown]
	v_fma_f64 v[68:69], v[94:95], -0.5, v[68:69]
	v_fma_f64 v[70:71], v[82:83], -0.5, v[70:71]
	;; [unrolled: 1-line block ×6, first 2 shown]
	v_add_f64 v[104:105], v[92:93], v[84:85]
	v_add_f64 v[106:107], v[96:97], v[86:87]
	;; [unrolled: 1-line block ×6, first 2 shown]
	v_fma_f64 v[96:97], v[98:99], s[2:3], v[68:69]
	v_fma_f64 v[108:109], v[98:99], s[4:5], v[68:69]
	;; [unrolled: 1-line block ×12, first 2 shown]
	v_lshrrev_b32_e32 v40, 3, v132
	ds_write_b128 v133, v[104:107]
	ds_write_b128 v133, v[96:99] offset:128
	buffer_store_dword v133, off, s[48:51], 0 offset:8 ; 4-byte Folded Spill
	ds_write_b128 v133, v[108:111] offset:256
	ds_write_b128 v156, v[100:103]
	ds_write_b128 v156, v[112:115] offset:128
	ds_write_b128 v156, v[120:123] offset:256
	buffer_store_dword v40, off, s[48:51], 0 offset:12 ; 4-byte Folded Spill
	s_and_saveexec_b64 s[2:3], s[0:1]
	s_cbranch_execz .LBB0_5
; %bb.4:
	buffer_load_dword v40, off, s[48:51], 0 offset:12 ; 4-byte Folded Reload
	buffer_load_dword v41, off, s[48:51], 0 offset:4 ; 4-byte Folded Reload
	s_waitcnt vmcnt(1)
	v_mul_u32_u24_e32 v40, 24, v40
	s_waitcnt vmcnt(0)
	v_or_b32_e32 v40, v40, v41
	v_lshl_add_u32 v40, v40, 4, v153
	ds_write_b128 v40, v[116:119]
	ds_write_b128 v40, v[124:127] offset:128
	ds_write_b128 v40, v[128:131] offset:256
.LBB0_5:
	s_or_b64 exec, exec, s[2:3]
	v_cmp_gt_u16_e64 s[2:3], 24, v253
	s_waitcnt vmcnt(0) lgkmcnt(0)
	s_barrier
	s_waitcnt lgkmcnt(0)
                                        ; implicit-def: $vgpr132_vgpr133
                                        ; implicit-def: $vgpr136_vgpr137
	s_and_saveexec_b64 s[4:5], s[2:3]
	s_cbranch_execz .LBB0_7
; %bb.6:
	ds_read_b128 v[104:107], v254
	ds_read_b128 v[96:99], v254 offset:384
	ds_read_b128 v[108:111], v254 offset:768
	;; [unrolled: 1-line block ×10, first 2 shown]
.LBB0_7:
	s_or_b64 exec, exec, s[4:5]
	v_subrev_u32_e32 v40, 24, v253
	v_cndmask_b32_e64 v40, v40, v253, s[2:3]
	v_mul_hi_i32_i24_e32 v41, 0xa0, v40
	v_mul_i32_i24_e32 v40, 0xa0, v40
	v_mov_b32_e32 v42, s15
	v_add_co_u32_e32 v76, vcc, s14, v40
	v_addc_co_u32_e32 v77, vcc, v42, v41, vcc
	global_load_dwordx4 v[48:51], v[76:77], off offset:256
	global_load_dwordx4 v[40:43], v[76:77], off offset:272
	;; [unrolled: 1-line block ×9, first 2 shown]
	s_nop 0
	global_load_dwordx4 v[76:79], v[76:77], off offset:400
	s_mov_b32 s18, 0xf8bb580b
	s_mov_b32 s19, 0xbfe14ced
	s_mov_b32 s16, 0x8eee2c13
	s_mov_b32 s17, 0xbfed1bb4
	s_mov_b32 s14, 0x8764f0ba
	s_mov_b32 s15, 0x3feaeb8c
	s_mov_b32 s4, 0xd9c712b6
	s_mov_b32 s20, 0x43842ef
	s_mov_b32 s5, 0x3fda9628
	s_mov_b32 s21, 0xbfefac9e
	s_mov_b32 s22, 0x640f44db
	s_mov_b32 s23, 0xbfc2375f
	s_mov_b32 s28, 0xbb3a28a1
	s_mov_b32 s29, 0xbfe82f19
	s_mov_b32 s24, 0x7f775887
	s_mov_b32 s25, 0xbfe4f49e
	s_mov_b32 s36, 0xfd768dbf
	s_mov_b32 s37, 0x3fd207e7
	s_mov_b32 s35, 0xbfd207e7
	s_mov_b32 s34, s36
	s_mov_b32 s26, 0x9bcd5057
	s_mov_b32 s27, 0xbfeeb42a
	s_mov_b32 s39, 0x3fefac9e
	s_mov_b32 s38, s20
	s_mov_b32 s41, 0x3fe14ced
	s_mov_b32 s40, s18
	s_mov_b32 s43, 0x3fed1bb4
	s_mov_b32 s42, s16
	s_waitcnt vmcnt(9) lgkmcnt(9)
	v_mul_f64 v[141:142], v[98:99], v[50:51]
	v_mul_f64 v[143:144], v[96:97], v[50:51]
	s_waitcnt vmcnt(8) lgkmcnt(8)
	v_mul_f64 v[145:146], v[110:111], v[42:43]
	s_waitcnt vmcnt(6) lgkmcnt(6)
	v_mul_f64 v[165:166], v[114:115], v[74:75]
	v_mul_f64 v[167:168], v[112:113], v[74:75]
	s_waitcnt vmcnt(5) lgkmcnt(5)
	v_mul_f64 v[169:170], v[122:123], v[94:95]
	;; [unrolled: 3-line block ×3, first 2 shown]
	s_waitcnt vmcnt(1) lgkmcnt(1)
	v_mul_f64 v[187:188], v[134:135], v[66:67]
	s_waitcnt vmcnt(0) lgkmcnt(0)
	v_mul_f64 v[177:178], v[138:139], v[78:79]
	v_fma_f64 v[159:160], v[96:97], v[48:49], -v[141:142]
	v_fma_f64 v[161:162], v[98:99], v[48:49], v[143:144]
	v_fma_f64 v[143:144], v[112:113], v[72:73], -v[165:166]
	v_mul_f64 v[175:176], v[116:117], v[90:91]
	v_mul_f64 v[189:190], v[136:137], v[78:79]
	v_fma_f64 v[151:152], v[108:109], v[40:41], -v[145:146]
	v_fma_f64 v[141:142], v[122:123], v[92:93], v[171:172]
	v_fma_f64 v[112:113], v[136:137], v[76:77], -v[177:178]
	v_fma_f64 v[136:137], v[120:121], v[92:93], -v[169:170]
	;; [unrolled: 1-line block ×4, first 2 shown]
	v_mul_f64 v[147:148], v[108:109], v[42:43]
	v_mul_f64 v[149:150], v[102:103], v[70:71]
	;; [unrolled: 1-line block ×4, first 2 shown]
	v_add_f64 v[169:170], v[159:160], -v[112:113]
	v_fma_f64 v[138:139], v[138:139], v[76:77], v[189:190]
	v_mul_f64 v[185:186], v[128:129], v[82:83]
	v_add_f64 v[171:172], v[151:152], -v[116:117]
	v_fma_f64 v[157:158], v[110:111], v[40:41], v[147:148]
	v_fma_f64 v[147:148], v[100:101], v[68:69], -v[149:150]
	v_fma_f64 v[149:150], v[102:103], v[68:69], v[163:164]
	v_fma_f64 v[145:146], v[114:115], v[72:73], v[167:168]
	v_mul_f64 v[98:99], v[169:170], s[18:19]
	v_fma_f64 v[114:115], v[134:135], v[64:65], v[96:97]
	v_add_f64 v[177:178], v[161:162], -v[138:139]
	v_mul_f64 v[102:103], v[171:172], s[16:17]
	buffer_store_dword v98, off, s[48:51], 0 offset:16 ; 4-byte Folded Spill
	s_nop 0
	buffer_store_dword v99, off, s[48:51], 0 offset:20 ; 4-byte Folded Spill
	buffer_store_dword v102, off, s[48:51], 0 offset:24 ; 4-byte Folded Spill
	s_nop 0
	buffer_store_dword v103, off, s[48:51], 0 offset:28 ; 4-byte Folded Spill
	v_mul_f64 v[181:182], v[130:131], v[82:83]
	v_fma_f64 v[132:133], v[118:119], v[88:89], v[175:176]
	v_fma_f64 v[118:119], v[130:131], v[80:81], v[185:186]
	v_add_f64 v[163:164], v[159:160], v[112:113]
	v_add_f64 v[173:174], v[157:158], -v[114:115]
	v_mul_f64 v[134:135], v[177:178], s[18:19]
	v_mul_f64 v[183:184], v[124:125], v[86:87]
	v_add_f64 v[185:186], v[161:162], v[138:139]
	v_fma_f64 v[120:121], v[128:129], v[80:81], -v[181:182]
	v_add_f64 v[165:166], v[151:152], v[116:117]
	v_add_f64 v[175:176], v[149:150], -v[118:119]
	v_mul_f64 v[179:180], v[126:127], v[86:87]
	v_mul_f64 v[187:188], v[173:174], s[16:17]
	v_fma_f64 v[96:97], v[163:164], s[14:15], v[134:135]
	v_add_f64 v[181:182], v[157:158], v[114:115]
	v_fma_f64 v[126:127], v[126:127], v[84:85], v[183:184]
	v_add_f64 v[167:168], v[147:148], v[120:121]
	v_add_f64 v[195:196], v[147:148], -v[120:121]
	v_mul_f64 v[130:131], v[175:176], s[20:21]
	v_fma_f64 v[124:125], v[124:125], v[84:85], -v[179:180]
	v_fma_f64 v[100:101], v[165:166], s[4:5], v[187:188]
	v_add_f64 v[96:97], v[104:105], v[96:97]
	v_add_f64 v[199:200], v[149:150], v[118:119]
	v_add_f64 v[203:204], v[145:146], -v[126:127]
	v_add_f64 v[223:224], v[145:146], v[126:127]
	v_mul_f64 v[179:180], v[195:196], s[20:21]
	v_add_f64 v[231:232], v[141:142], -v[132:133]
	v_add_f64 v[193:194], v[143:144], v[124:125]
	v_add_f64 v[205:206], v[143:144], -v[124:125]
	v_add_f64 v[96:97], v[100:101], v[96:97]
	v_fma_f64 v[100:101], v[167:168], s[22:23], v[130:131]
	v_mul_f64 v[183:184], v[203:204], s[28:29]
	v_add_f64 v[225:226], v[136:137], v[122:123]
	v_add_f64 v[233:234], v[136:137], -v[122:123]
	v_mul_f64 v[189:190], v[231:232], s[34:35]
	v_add_f64 v[245:246], v[141:142], v[132:133]
	v_mul_f64 v[197:198], v[177:178], s[16:17]
	v_mul_f64 v[201:202], v[173:174], s[28:29]
	v_add_f64 v[96:97], v[100:101], v[96:97]
	v_fma_f64 v[100:101], v[199:200], s[22:23], -v[179:180]
	v_mul_f64 v[213:214], v[169:170], s[16:17]
	v_mul_f64 v[191:192], v[233:234], s[34:35]
	;; [unrolled: 1-line block ×10, first 2 shown]
	v_fma_f64 v[108:109], v[181:182], s[24:25], -v[215:216]
	v_mul_f64 v[227:228], v[173:174], s[36:37]
	v_mul_f64 v[249:250], v[169:170], s[20:21]
	;; [unrolled: 1-line block ×8, first 2 shown]
	v_fma_f64 v[110:111], v[165:166], s[26:27], v[227:228]
	v_mul_f64 v[247:248], v[233:234], s[28:29]
	v_fma_f64 v[128:129], v[181:182], s[26:27], -v[251:252]
	v_fma_f64 v[98:99], v[185:186], s[14:15], -v[98:99]
	;; [unrolled: 1-line block ×3, first 2 shown]
	v_add_f64 v[98:99], v[106:107], v[98:99]
	v_add_f64 v[98:99], v[102:103], v[98:99]
	v_fma_f64 v[102:103], v[165:166], s[24:25], v[201:202]
	v_add_f64 v[98:99], v[100:101], v[98:99]
	v_fma_f64 v[100:101], v[193:194], s[24:25], v[183:184]
	v_add_f64 v[96:97], v[100:101], v[96:97]
	v_mul_f64 v[100:101], v[205:206], s[28:29]
	buffer_store_dword v100, off, s[48:51], 0 offset:32 ; 4-byte Folded Spill
	s_nop 0
	buffer_store_dword v101, off, s[48:51], 0 offset:36 ; 4-byte Folded Spill
	v_fma_f64 v[100:101], v[223:224], s[24:25], -v[100:101]
	v_add_f64 v[98:99], v[100:101], v[98:99]
	v_fma_f64 v[100:101], v[225:226], s[26:27], v[189:190]
	v_add_f64 v[96:97], v[100:101], v[96:97]
	v_fma_f64 v[100:101], v[245:246], s[26:27], -v[191:192]
	v_add_f64 v[98:99], v[100:101], v[98:99]
	v_fma_f64 v[100:101], v[163:164], s[4:5], v[197:198]
	v_add_f64 v[100:101], v[104:105], v[100:101]
	v_add_f64 v[100:101], v[102:103], v[100:101]
	v_fma_f64 v[102:103], v[185:186], s[4:5], -v[213:214]
	v_add_f64 v[102:103], v[106:107], v[102:103]
	v_add_f64 v[102:103], v[108:109], v[102:103]
	v_fma_f64 v[108:109], v[167:168], s[26:27], v[207:208]
	v_add_f64 v[100:101], v[108:109], v[100:101]
	v_fma_f64 v[108:109], v[199:200], s[26:27], -v[217:218]
	v_add_f64 v[102:103], v[108:109], v[102:103]
	v_fma_f64 v[108:109], v[193:194], s[22:23], v[209:210]
	v_add_f64 v[100:101], v[108:109], v[100:101]
	v_fma_f64 v[108:109], v[223:224], s[22:23], -v[219:220]
	;; [unrolled: 4-line block ×3, first 2 shown]
	v_add_f64 v[102:103], v[108:109], v[102:103]
	v_fma_f64 v[108:109], v[163:164], s[22:23], v[229:230]
	v_add_f64 v[108:109], v[104:105], v[108:109]
	v_add_f64 v[108:109], v[110:111], v[108:109]
	v_fma_f64 v[110:111], v[185:186], s[22:23], -v[249:250]
	v_add_f64 v[110:111], v[106:107], v[110:111]
	v_add_f64 v[110:111], v[128:129], v[110:111]
	v_fma_f64 v[128:129], v[167:168], s[4:5], v[235:236]
	v_add_f64 v[108:109], v[128:129], v[108:109]
	v_fma_f64 v[128:129], v[199:200], s[4:5], -v[239:240]
	v_add_f64 v[110:111], v[128:129], v[110:111]
	v_fma_f64 v[128:129], v[193:194], s[14:15], v[237:238]
	v_add_f64 v[108:109], v[128:129], v[108:109]
	v_fma_f64 v[128:129], v[223:224], s[14:15], -v[243:244]
	;; [unrolled: 4-line block ×3, first 2 shown]
	v_add_f64 v[110:111], v[128:129], v[110:111]
	s_mov_b64 s[30:31], exec
	s_and_b64 s[44:45], s[30:31], s[2:3]
	buffer_store_dword v153, off, s[48:51], 0 ; 4-byte Folded Spill
	s_mov_b64 exec, s[44:45]
	s_cbranch_execz .LBB0_9
; %bb.8:
	v_mul_f64 v[128:129], v[163:164], s[14:15]
	s_mov_b32 s45, 0x3fe82f19
	s_mov_b32 s44, s28
	v_mul_f64 v[153:154], v[181:182], s[26:27]
	buffer_store_dword v128, off, s[48:51], 0 offset:88 ; 4-byte Folded Spill
	s_nop 0
	buffer_store_dword v129, off, s[48:51], 0 offset:92 ; 4-byte Folded Spill
	v_mul_f64 v[128:129], v[185:186], s[14:15]
	buffer_store_dword v128, off, s[48:51], 0 offset:144 ; 4-byte Folded Spill
	s_nop 0
	buffer_store_dword v129, off, s[48:51], 0 offset:148 ; 4-byte Folded Spill
	;; [unrolled: 4-line block ×5, first 2 shown]
	buffer_store_dword v179, off, s[48:51], 0 offset:48 ; 4-byte Folded Spill
	s_nop 0
	buffer_store_dword v180, off, s[48:51], 0 offset:52 ; 4-byte Folded Spill
	v_mul_f64 v[128:129], v[165:166], s[4:5]
	v_mul_f64 v[179:180], v[185:186], s[22:23]
	buffer_store_dword v128, off, s[48:51], 0 offset:80 ; 4-byte Folded Spill
	s_nop 0
	buffer_store_dword v129, off, s[48:51], 0 offset:84 ; 4-byte Folded Spill
	v_mul_f64 v[128:129], v[181:182], s[4:5]
	buffer_store_dword v128, off, s[48:51], 0 offset:128 ; 4-byte Folded Spill
	s_nop 0
	buffer_store_dword v129, off, s[48:51], 0 offset:132 ; 4-byte Folded Spill
	;; [unrolled: 4-line block ×19, first 2 shown]
	buffer_store_dword v141, off, s[48:51], 0 offset:240 ; 4-byte Folded Spill
	s_nop 0
	buffer_store_dword v142, off, s[48:51], 0 offset:244 ; 4-byte Folded Spill
	v_mul_f64 v[141:142], v[225:226], s[14:15]
	v_mul_f64 v[128:129], v[223:224], s[4:5]
	buffer_store_dword v141, off, s[48:51], 0 offset:160 ; 4-byte Folded Spill
	s_nop 0
	buffer_store_dword v142, off, s[48:51], 0 offset:164 ; 4-byte Folded Spill
	v_mul_f64 v[141:142], v[245:246], s[14:15]
	buffer_store_dword v141, off, s[48:51], 0 offset:280 ; 4-byte Folded Spill
	s_nop 0
	buffer_store_dword v142, off, s[48:51], 0 offset:284 ; 4-byte Folded Spill
	buffer_store_dword v130, off, s[48:51], 0 offset:184 ; 4-byte Folded Spill
	s_nop 0
	buffer_store_dword v131, off, s[48:51], 0 offset:188 ; 4-byte Folded Spill
	v_mul_f64 v[141:142], v[225:226], s[24:25]
	v_mul_f64 v[130:131], v[185:186], s[26:27]
	buffer_store_dword v141, off, s[48:51], 0 offset:328 ; 4-byte Folded Spill
	s_nop 0
	buffer_store_dword v142, off, s[48:51], 0 offset:332 ; 4-byte Folded Spill
	buffer_store_dword v183, off, s[48:51], 0 offset:272 ; 4-byte Folded Spill
	s_nop 0
	buffer_store_dword v184, off, s[48:51], 0 offset:276 ; 4-byte Folded Spill
	buffer_store_dword v134, off, s[48:51], 0 offset:344 ; 4-byte Folded Spill
	s_nop 0
	buffer_store_dword v135, off, s[48:51], 0 offset:348 ; 4-byte Folded Spill
	buffer_store_dword v187, off, s[48:51], 0 offset:336 ; 4-byte Folded Spill
	s_nop 0
	buffer_store_dword v188, off, s[48:51], 0 offset:340 ; 4-byte Folded Spill
	buffer_store_dword v138, off, s[48:51], 0 offset:168 ; 4-byte Folded Spill
	s_nop 0
	buffer_store_dword v139, off, s[48:51], 0 offset:172 ; 4-byte Folded Spill
	buffer_store_dword v112, off, s[48:51], 0 offset:176 ; 4-byte Folded Spill
	s_nop 0
	buffer_store_dword v113, off, s[48:51], 0 offset:180 ; 4-byte Folded Spill
	buffer_store_dword v114, off, s[48:51], 0 offset:264 ; 4-byte Folded Spill
	s_nop 0
	buffer_store_dword v115, off, s[48:51], 0 offset:268 ; 4-byte Folded Spill
	v_mul_f64 v[183:184], v[177:178], s[34:35]
	v_mul_f64 v[112:113], v[181:182], s[14:15]
	v_fma_f64 v[114:115], v[169:170], s[36:37], v[130:131]
	buffer_store_dword v116, off, s[48:51], 0 offset:288 ; 4-byte Folded Spill
	s_nop 0
	buffer_store_dword v117, off, s[48:51], 0 offset:292 ; 4-byte Folded Spill
	buffer_store_dword v118, off, s[48:51], 0 offset:312 ; 4-byte Folded Spill
	s_nop 0
	buffer_store_dword v119, off, s[48:51], 0 offset:316 ; 4-byte Folded Spill
	;; [unrolled: 3-line block ×4, first 2 shown]
	v_mul_f64 v[187:188], v[199:200], s[24:25]
	v_mul_f64 v[116:117], v[173:174], s[40:41]
	v_fma_f64 v[118:119], v[163:164], s[26:27], v[183:184]
	v_fma_f64 v[130:131], v[169:170], s[34:35], v[130:131]
	;; [unrolled: 1-line block ×3, first 2 shown]
	v_fma_f64 v[183:184], v[163:164], s[26:27], -v[183:184]
	v_add_f64 v[114:115], v[106:107], v[114:115]
	buffer_store_dword v132, off, s[48:51], 0 offset:360 ; 4-byte Folded Spill
	s_nop 0
	buffer_store_dword v133, off, s[48:51], 0 offset:364 ; 4-byte Folded Spill
	buffer_store_dword v136, off, s[48:51], 0 offset:368 ; 4-byte Folded Spill
	s_nop 0
	buffer_store_dword v137, off, s[48:51], 0 offset:372 ; 4-byte Folded Spill
	v_fma_f64 v[120:121], v[195:196], s[44:45], v[187:188]
	v_fma_f64 v[132:133], v[165:166], s[14:15], v[116:117]
	v_add_f64 v[118:119], v[104:105], v[118:119]
	v_mul_f64 v[136:137], v[175:176], s[28:29]
	v_fma_f64 v[112:113], v[171:172], s[40:41], v[112:113]
	v_add_f64 v[130:131], v[106:107], v[130:131]
	v_fma_f64 v[116:117], v[165:166], s[14:15], -v[116:117]
	v_add_f64 v[183:184], v[104:105], v[183:184]
	v_add_f64 v[114:115], v[122:123], v[114:115]
	buffer_load_dword v141, off, s[48:51], 0 offset:248 ; 4-byte Folded Reload
	buffer_load_dword v142, off, s[48:51], 0 offset:252 ; 4-byte Folded Reload
	v_mul_f64 v[134:135], v[245:246], s[22:23]
	v_fma_f64 v[138:139], v[205:206], s[16:17], v[128:129]
	v_mul_f64 v[122:123], v[203:204], s[42:43]
	v_add_f64 v[118:119], v[132:133], v[118:119]
	v_fma_f64 v[132:133], v[167:168], s[24:25], v[136:137]
	v_fma_f64 v[187:188], v[195:196], s[28:29], v[187:188]
	v_add_f64 v[112:113], v[112:113], v[130:131]
	v_fma_f64 v[130:131], v[167:168], s[24:25], -v[136:137]
	v_add_f64 v[116:117], v[116:117], v[183:184]
	v_add_f64 v[114:115], v[120:121], v[114:115]
	v_mul_f64 v[120:121], v[231:232], s[20:21]
	v_fma_f64 v[136:137], v[193:194], s[4:5], v[122:123]
	v_add_f64 v[118:119], v[132:133], v[118:119]
	v_fma_f64 v[128:129], v[205:206], s[42:43], v[128:129]
	v_add_f64 v[112:113], v[187:188], v[112:113]
	v_fma_f64 v[122:123], v[193:194], s[4:5], -v[122:123]
	v_add_f64 v[116:117], v[130:131], v[116:117]
	v_fma_f64 v[130:131], v[233:234], s[38:39], v[134:135]
	v_add_f64 v[114:115], v[138:139], v[114:115]
	v_fma_f64 v[132:133], v[225:226], s[22:23], v[120:121]
	;; [unrolled: 2-line block ×3, first 2 shown]
	v_add_f64 v[112:113], v[128:129], v[112:113]
	v_fma_f64 v[120:121], v[225:226], s[22:23], -v[120:121]
	v_add_f64 v[116:117], v[122:123], v[116:117]
	v_mul_f64 v[136:137], v[173:174], s[38:39]
	v_add_f64 v[130:131], v[130:131], v[114:115]
	v_mul_f64 v[114:115], v[185:186], s[24:25]
	;; [unrolled: 2-line block ×5, first 2 shown]
	v_mul_f64 v[120:121], v[245:246], s[4:5]
	v_fma_f64 v[132:133], v[169:170], s[28:29], v[114:115]
	v_fma_f64 v[114:115], v[169:170], s[44:45], v[114:115]
	v_mul_f64 v[169:170], v[199:200], s[14:15]
	v_fma_f64 v[134:135], v[205:206], s[36:37], v[118:119]
	v_fma_f64 v[138:139], v[163:164], s[24:25], v[112:113]
	v_fma_f64 v[112:113], v[163:164], s[24:25], -v[112:113]
	v_fma_f64 v[173:174], v[171:172], s[20:21], v[116:117]
	v_fma_f64 v[116:117], v[171:172], s[38:39], v[116:117]
	v_add_f64 v[132:133], v[106:107], v[132:133]
	v_add_f64 v[114:115], v[106:107], v[114:115]
	v_mul_f64 v[171:172], v[175:176], s[18:19]
	v_fma_f64 v[175:176], v[165:166], s[22:23], v[136:137]
	v_add_f64 v[138:139], v[104:105], v[138:139]
	v_fma_f64 v[177:178], v[195:196], s[40:41], v[169:170]
	v_fma_f64 v[169:170], v[195:196], s[18:19], v[169:170]
	;; [unrolled: 1-line block ×3, first 2 shown]
	v_add_f64 v[116:117], v[116:117], v[132:133]
	v_add_f64 v[114:115], v[173:174], v[114:115]
	v_fma_f64 v[163:164], v[167:168], s[14:15], v[171:172]
	v_fma_f64 v[136:137], v[165:166], s[22:23], -v[136:137]
	v_add_f64 v[138:139], v[175:176], v[138:139]
	v_add_f64 v[112:113], v[104:105], v[112:113]
	v_mul_f64 v[132:133], v[203:204], s[34:35]
	v_fma_f64 v[167:168], v[167:168], s[14:15], -v[171:172]
	v_add_f64 v[116:117], v[169:170], v[116:117]
	v_add_f64 v[114:115], v[177:178], v[114:115]
	v_mul_f64 v[165:166], v[231:232], s[42:43]
	v_mul_f64 v[122:123], v[245:246], s[24:25]
	v_add_f64 v[138:139], v[163:164], v[138:139]
	v_fma_f64 v[163:164], v[233:234], s[42:43], v[120:121]
	v_add_f64 v[112:113], v[136:137], v[112:113]
	v_fma_f64 v[136:137], v[233:234], s[16:17], v[120:121]
	v_add_f64 v[116:117], v[118:119], v[116:117]
	v_add_f64 v[118:119], v[249:250], v[179:180]
	;; [unrolled: 1-line block ×3, first 2 shown]
	v_fma_f64 v[114:115], v[193:194], s[26:27], -v[132:133]
	v_add_f64 v[120:121], v[106:107], v[161:162]
	v_fma_f64 v[169:170], v[193:194], s[26:27], v[132:133]
	v_add_f64 v[112:113], v[167:168], v[112:113]
	v_fma_f64 v[171:172], v[225:226], s[4:5], v[165:166]
	v_add_f64 v[163:164], v[163:164], v[116:117]
	v_add_f64 v[116:117], v[251:252], v[153:154]
	;; [unrolled: 1-line block ×4, first 2 shown]
	s_waitcnt vmcnt(0)
	v_add_f64 v[159:160], v[213:214], v[141:142]
	v_add_f64 v[120:121], v[120:121], v[157:158]
	;; [unrolled: 1-line block ×3, first 2 shown]
	buffer_load_dword v112, off, s[48:51], 0 offset:304 ; 4-byte Folded Reload
	buffer_load_dword v113, off, s[48:51], 0 offset:308 ; 4-byte Folded Reload
	;; [unrolled: 1-line block ×4, first 2 shown]
	v_fma_f64 v[132:133], v[225:226], s[4:5], -v[165:166]
	v_add_f64 v[116:117], v[116:117], v[118:119]
	buffer_load_dword v118, off, s[48:51], 0 offset:256 ; 4-byte Folded Reload
	buffer_load_dword v119, off, s[48:51], 0 offset:260 ; 4-byte Folded Reload
	;; [unrolled: 1-line block ×4, first 2 shown]
	v_add_f64 v[151:152], v[153:154], v[151:152]
	v_add_f64 v[153:154], v[106:107], v[159:160]
	;; [unrolled: 1-line block ×9, first 2 shown]
	s_waitcnt vmcnt(6)
	v_add_f64 v[112:113], v[239:240], v[112:113]
	s_waitcnt vmcnt(4)
	v_add_f64 v[114:115], v[114:115], -v[229:230]
	s_waitcnt vmcnt(2)
	v_add_f64 v[118:119], v[215:216], v[118:119]
	s_waitcnt vmcnt(0)
	v_add_f64 v[157:158], v[243:244], v[141:142]
	buffer_load_dword v141, off, s[48:51], 0 offset:208 ; 4-byte Folded Reload
	buffer_load_dword v142, off, s[48:51], 0 offset:212 ; 4-byte Folded Reload
	v_add_f64 v[112:113], v[112:113], v[116:117]
	buffer_load_dword v116, off, s[48:51], 0 offset:232 ; 4-byte Folded Reload
	buffer_load_dword v117, off, s[48:51], 0 offset:236 ; 4-byte Folded Reload
	v_add_f64 v[114:115], v[104:105], v[114:115]
	v_add_f64 v[118:119], v[118:119], v[153:154]
	;; [unrolled: 1-line block ×3, first 2 shown]
	s_waitcnt vmcnt(2)
	v_add_f64 v[159:160], v[141:142], -v[227:228]
	buffer_load_dword v141, off, s[48:51], 0 offset:200 ; 4-byte Folded Reload
	buffer_load_dword v142, off, s[48:51], 0 offset:204 ; 4-byte Folded Reload
	s_waitcnt vmcnt(2)
	v_add_f64 v[116:117], v[217:218], v[116:117]
	v_add_f64 v[114:115], v[159:160], v[114:115]
	v_add_f64 v[116:117], v[116:117], v[118:119]
	s_waitcnt vmcnt(0)
	v_add_f64 v[149:150], v[141:142], -v[235:236]
	buffer_load_dword v141, off, s[48:51], 0 offset:216 ; 4-byte Folded Reload
	buffer_load_dword v142, off, s[48:51], 0 offset:220 ; 4-byte Folded Reload
	;; [unrolled: 1-line block ×4, first 2 shown]
	v_add_f64 v[114:115], v[149:150], v[114:115]
	s_waitcnt vmcnt(2)
	v_add_f64 v[151:152], v[219:220], v[141:142]
	s_waitcnt vmcnt(0)
	v_add_f64 v[145:146], v[118:119], -v[241:242]
	buffer_load_dword v118, off, s[48:51], 0 offset:192 ; 4-byte Folded Reload
	buffer_load_dword v119, off, s[48:51], 0 offset:196 ; 4-byte Folded Reload
	;; [unrolled: 1-line block ×8, first 2 shown]
	v_add_f64 v[116:117], v[151:152], v[116:117]
	s_waitcnt vmcnt(6)
	v_add_f64 v[118:119], v[118:119], -v[237:238]
	s_waitcnt vmcnt(4)
	v_add_f64 v[147:148], v[221:222], v[141:142]
	buffer_load_dword v141, off, s[48:51], 0 offset:240 ; 4-byte Folded Reload
	buffer_load_dword v142, off, s[48:51], 0 offset:244 ; 4-byte Folded Reload
	s_waitcnt vmcnt(2)
	v_add_f64 v[149:150], v[149:150], v[153:154]
	v_add_f64 v[106:107], v[106:107], v[149:150]
	s_waitcnt vmcnt(0)
	v_add_f64 v[120:121], v[120:121], v[141:142]
	buffer_load_dword v141, off, s[48:51], 0 offset:368 ; 4-byte Folded Reload
	buffer_load_dword v142, off, s[48:51], 0 offset:372 ; 4-byte Folded Reload
	s_waitcnt vmcnt(0)
	v_add_f64 v[141:142], v[143:144], v[141:142]
	buffer_load_dword v143, off, s[48:51], 0 offset:88 ; 4-byte Folded Reload
	buffer_load_dword v144, off, s[48:51], 0 offset:92 ; 4-byte Folded Reload
	;; [unrolled: 1-line block ×4, first 2 shown]
	s_waitcnt vmcnt(0)
	v_add_f64 v[143:144], v[143:144], -v[151:152]
	buffer_load_dword v151, off, s[48:51], 0 offset:104 ; 4-byte Folded Reload
	buffer_load_dword v152, off, s[48:51], 0 offset:108 ; 4-byte Folded Reload
	;; [unrolled: 1-line block ×10, first 2 shown]
	v_add_f64 v[143:144], v[104:105], v[143:144]
	s_waitcnt vmcnt(8)
	v_add_f64 v[151:152], v[151:152], -v[197:198]
	s_waitcnt vmcnt(6)
	v_add_f64 v[153:154], v[153:154], -v[201:202]
	s_waitcnt vmcnt(2)
	v_add_f64 v[157:158], v[157:158], v[159:160]
	s_waitcnt vmcnt(0)
	v_add_f64 v[120:121], v[120:121], v[149:150]
	buffer_load_dword v149, off, s[48:51], 0 offset:352 ; 4-byte Folded Reload
	buffer_load_dword v150, off, s[48:51], 0 offset:356 ; 4-byte Folded Reload
	v_add_f64 v[104:105], v[104:105], v[151:152]
	v_add_f64 v[106:107], v[157:158], v[106:107]
	;; [unrolled: 1-line block ×4, first 2 shown]
	s_waitcnt vmcnt(0)
	v_add_f64 v[141:142], v[141:142], v[149:150]
	buffer_load_dword v149, off, s[48:51], 0 offset:80 ; 4-byte Folded Reload
	buffer_load_dword v150, off, s[48:51], 0 offset:84 ; 4-byte Folded Reload
	buffer_load_dword v159, off, s[48:51], 0 offset:336 ; 4-byte Folded Reload
	buffer_load_dword v160, off, s[48:51], 0 offset:340 ; 4-byte Folded Reload
	buffer_load_dword v151, off, s[48:51], 0 offset:136 ; 4-byte Folded Reload
	buffer_load_dword v152, off, s[48:51], 0 offset:140 ; 4-byte Folded Reload
	v_add_f64 v[124:125], v[141:142], v[124:125]
	s_waitcnt vmcnt(2)
	v_add_f64 v[149:150], v[149:150], -v[159:160]
	buffer_load_dword v159, off, s[48:51], 0 offset:48 ; 4-byte Folded Reload
	buffer_load_dword v160, off, s[48:51], 0 offset:52 ; 4-byte Folded Reload
	;; [unrolled: 1-line block ×8, first 2 shown]
	s_waitcnt vmcnt(8)
	v_add_f64 v[151:152], v[151:152], -v[207:208]
	v_add_f64 v[104:105], v[151:152], v[104:105]
	s_waitcnt vmcnt(4)
	v_add_f64 v[159:160], v[159:160], v[165:166]
	s_waitcnt vmcnt(0)
	v_add_f64 v[126:127], v[126:127], -v[141:142]
	v_add_f64 v[141:142], v[149:150], v[143:144]
	buffer_load_dword v143, off, s[48:51], 0 offset:120 ; 4-byte Folded Reload
	buffer_load_dword v144, off, s[48:51], 0 offset:124 ; 4-byte Folded Reload
	buffer_load_dword v149, off, s[48:51], 0 offset:32 ; 4-byte Folded Reload
	buffer_load_dword v150, off, s[48:51], 0 offset:36 ; 4-byte Folded Reload
	buffer_load_dword v153, off, s[48:51], 0 offset:96 ; 4-byte Folded Reload
	buffer_load_dword v154, off, s[48:51], 0 offset:100 ; 4-byte Folded Reload
	v_add_f64 v[106:107], v[159:160], v[106:107]
	v_add_f64 v[126:127], v[126:127], v[141:142]
	s_waitcnt vmcnt(4)
	v_add_f64 v[143:144], v[143:144], -v[209:210]
	s_waitcnt vmcnt(0)
	v_add_f64 v[149:150], v[149:150], v[153:154]
	buffer_load_dword v153, off, s[48:51], 0 offset:312 ; 4-byte Folded Reload
	buffer_load_dword v154, off, s[48:51], 0 offset:316 ; 4-byte Folded Reload
	v_add_f64 v[104:105], v[143:144], v[104:105]
	v_add_f64 v[149:150], v[149:150], v[106:107]
	;; [unrolled: 1-line block ×4, first 2 shown]
	s_waitcnt vmcnt(0)
	v_add_f64 v[120:121], v[120:121], v[153:154]
	buffer_load_dword v153, off, s[48:51], 0 offset:320 ; 4-byte Folded Reload
	buffer_load_dword v154, off, s[48:51], 0 offset:324 ; 4-byte Folded Reload
	s_waitcnt vmcnt(0)
	v_add_f64 v[124:125], v[124:125], v[153:154]
	buffer_load_dword v153, off, s[48:51], 0 offset:56 ; 4-byte Folded Reload
	buffer_load_dword v154, off, s[48:51], 0 offset:60 ; 4-byte Folded Reload
	;; [unrolled: 1-line block ×10, first 2 shown]
	s_waitcnt vmcnt(6)
	v_add_f64 v[153:154], v[153:154], -v[157:158]
	s_waitcnt vmcnt(4)
	v_add_f64 v[141:142], v[141:142], -v[211:212]
	s_waitcnt vmcnt(2)
	v_add_f64 v[151:152], v[191:192], v[151:152]
	s_waitcnt vmcnt(0)
	v_add_f64 v[120:121], v[120:121], v[106:107]
	buffer_load_dword v106, off, s[48:51], 0 offset:288 ; 4-byte Folded Reload
	buffer_load_dword v107, off, s[48:51], 0 offset:292 ; 4-byte Folded Reload
	v_add_f64 v[126:127], v[153:154], v[126:127]
	s_waitcnt vmcnt(0)
	v_add_f64 v[124:125], v[124:125], v[106:107]
	buffer_load_dword v106, off, s[48:51], 0 offset:40 ; 4-byte Folded Reload
	buffer_load_dword v107, off, s[48:51], 0 offset:44 ; 4-byte Folded Reload
	buffer_load_dword v153, off, s[48:51], 0 ; 4-byte Folded Reload
	s_waitcnt vmcnt(1)
	v_add_f64 v[157:158], v[106:107], -v[189:190]
	v_add_f64 v[106:107], v[122:123], v[112:113]
	buffer_load_dword v112, off, s[48:51], 0 offset:168 ; 4-byte Folded Reload
	buffer_load_dword v113, off, s[48:51], 0 offset:172 ; 4-byte Folded Reload
	v_add_f64 v[122:123], v[151:152], v[149:150]
	s_waitcnt vmcnt(0)
	v_add_f64 v[118:119], v[120:121], v[112:113]
	buffer_load_dword v112, off, s[48:51], 0 offset:176 ; 4-byte Folded Reload
	buffer_load_dword v113, off, s[48:51], 0 offset:180 ; 4-byte Folded Reload
	v_add_f64 v[120:121], v[157:158], v[126:127]
	v_add_f64 v[126:127], v[136:137], v[134:135]
	s_waitcnt vmcnt(0)
	v_add_f64 v[116:117], v[124:125], v[112:113]
	v_add_f64 v[112:113], v[141:142], v[104:105]
	;; [unrolled: 1-line block ×4, first 2 shown]
	ds_write_b128 v254, v[116:119]
	v_lshl_add_u32 v116, v253, 4, v153
	ds_write_b128 v116, v[120:123] offset:384
	ds_write_b128 v116, v[112:115] offset:768
	;; [unrolled: 1-line block ×10, first 2 shown]
.LBB0_9:
	s_or_b64 exec, exec, s[30:31]
	v_mov_b32_e32 v104, s13
	v_add_co_u32_e32 v120, vcc, s12, v155
	v_addc_co_u32_e32 v133, vcc, 0, v104, vcc
	s_movk_i32 s4, 0x1080
	v_add_co_u32_e32 v136, vcc, s4, v120
	v_addc_co_u32_e32 v137, vcc, 0, v133, vcc
	s_waitcnt vmcnt(0) lgkmcnt(0)
	s_barrier
	global_load_dwordx4 v[104:107], v[136:137], off offset:528
	global_load_dwordx4 v[112:115], v[136:137], off offset:1056
	;; [unrolled: 1-line block ×3, first 2 shown]
	s_movk_i32 s4, 0x1000
	v_add_co_u32_e32 v132, vcc, s4, v120
	global_load_dwordx4 v[120:123], v[136:137], off offset:2112
	global_load_dwordx4 v[124:127], v[136:137], off offset:2640
	;; [unrolled: 1-line block ×3, first 2 shown]
	v_addc_co_u32_e32 v133, vcc, 0, v133, vcc
	global_load_dwordx4 v[132:135], v[132:133], off offset:128
	s_nop 0
	global_load_dwordx4 v[136:139], v[136:137], off offset:3696
	ds_read_b128 v[142:145], v254
	ds_read_b128 v[146:149], v254 offset:528
	v_lshl_add_u32 v141, v253, 4, v153
	ds_read_b128 v[157:160], v254 offset:1584
	ds_read_b128 v[161:164], v254 offset:2112
	;; [unrolled: 1-line block ×6, first 2 shown]
	s_mov_b32 s4, 0x667f3bcd
	s_mov_b32 s5, 0xbfe6a09e
	s_mov_b32 s13, 0x3fe6a09e
	s_mov_b32 s12, s4
	s_waitcnt vmcnt(6) lgkmcnt(1)
	v_mul_f64 v[152:153], v[175:176], v[114:115]
	v_mul_f64 v[150:151], v[148:149], v[106:107]
	v_mul_f64 v[106:107], v[146:147], v[106:107]
	v_mul_f64 v[114:115], v[173:174], v[114:115]
	s_waitcnt vmcnt(5)
	v_mul_f64 v[154:155], v[159:160], v[118:119]
	v_mul_f64 v[118:119], v[157:158], v[118:119]
	s_waitcnt vmcnt(4)
	v_mul_f64 v[181:182], v[163:164], v[122:123]
	v_mul_f64 v[122:123], v[161:162], v[122:123]
	;; [unrolled: 3-line block ×5, first 2 shown]
	s_waitcnt vmcnt(0) lgkmcnt(0)
	v_mul_f64 v[189:190], v[179:180], v[138:139]
	v_mul_f64 v[138:139], v[177:178], v[138:139]
	v_fma_f64 v[146:147], v[146:147], v[104:105], -v[150:151]
	v_fma_f64 v[148:149], v[148:149], v[104:105], v[106:107]
	v_fma_f64 v[104:105], v[173:174], v[112:113], -v[152:153]
	v_fma_f64 v[106:107], v[175:176], v[112:113], v[114:115]
	;; [unrolled: 2-line block ×8, first 2 shown]
	ds_write_b128 v254, v[146:149] offset:528
	ds_write_b128 v141, v[104:107] offset:1056
	;; [unrolled: 1-line block ×6, first 2 shown]
	ds_write_b128 v254, v[128:131]
	ds_write_b128 v254, v[132:135] offset:3696
	s_waitcnt lgkmcnt(0)
	s_barrier
	ds_read_b128 v[104:107], v254
	ds_read_b128 v[112:115], v254 offset:528
	ds_read_b128 v[116:119], v254 offset:1584
	;; [unrolled: 1-line block ×7, first 2 shown]
	s_waitcnt lgkmcnt(4)
	v_add_f64 v[120:121], v[104:105], -v[120:121]
	v_add_f64 v[122:123], v[106:107], -v[122:123]
	s_waitcnt lgkmcnt(3)
	v_add_f64 v[124:125], v[112:113], -v[124:125]
	s_waitcnt lgkmcnt(1)
	v_add_f64 v[128:129], v[132:133], -v[128:129]
	v_add_f64 v[130:131], v[134:135], -v[130:131]
	;; [unrolled: 1-line block ×3, first 2 shown]
	s_waitcnt lgkmcnt(0)
	v_add_f64 v[136:137], v[116:117], -v[136:137]
	v_add_f64 v[138:139], v[118:119], -v[138:139]
	v_fma_f64 v[104:105], v[104:105], 2.0, -v[120:121]
	v_fma_f64 v[106:107], v[106:107], 2.0, -v[122:123]
	v_fma_f64 v[112:113], v[112:113], 2.0, -v[124:125]
	v_fma_f64 v[132:133], v[132:133], 2.0, -v[128:129]
	v_fma_f64 v[134:135], v[134:135], 2.0, -v[130:131]
	v_fma_f64 v[114:115], v[114:115], 2.0, -v[126:127]
	v_fma_f64 v[116:117], v[116:117], 2.0, -v[136:137]
	v_fma_f64 v[118:119], v[118:119], 2.0, -v[138:139]
	v_add_f64 v[130:131], v[120:121], v[130:131]
	v_add_f64 v[142:143], v[122:123], -v[128:129]
	v_add_f64 v[128:129], v[124:125], v[138:139]
	v_add_f64 v[136:137], v[126:127], -v[136:137]
	v_add_f64 v[132:133], v[104:105], -v[132:133]
	v_add_f64 v[134:135], v[106:107], -v[134:135]
	v_add_f64 v[116:117], v[112:113], -v[116:117]
	v_add_f64 v[118:119], v[114:115], -v[118:119]
	v_fma_f64 v[138:139], v[120:121], 2.0, -v[130:131]
	v_fma_f64 v[144:145], v[122:123], 2.0, -v[142:143]
	;; [unrolled: 1-line block ×4, first 2 shown]
	v_fma_f64 v[124:125], v[128:129], s[12:13], v[130:131]
	v_fma_f64 v[126:127], v[136:137], s[12:13], v[142:143]
	v_fma_f64 v[146:147], v[104:105], 2.0, -v[132:133]
	v_fma_f64 v[148:149], v[106:107], 2.0, -v[134:135]
	;; [unrolled: 1-line block ×4, first 2 shown]
	v_fma_f64 v[150:151], v[122:123], s[4:5], v[138:139]
	v_fma_f64 v[152:153], v[120:121], s[4:5], v[144:145]
	v_add_f64 v[104:105], v[132:133], v[118:119]
	v_add_f64 v[106:107], v[134:135], -v[116:117]
	v_fma_f64 v[116:117], v[136:137], s[12:13], v[124:125]
	v_fma_f64 v[118:119], v[128:129], s[4:5], v[126:127]
	v_add_f64 v[112:113], v[146:147], -v[112:113]
	v_add_f64 v[114:115], v[148:149], -v[114:115]
	v_fma_f64 v[120:121], v[120:121], s[12:13], v[150:151]
	v_fma_f64 v[122:123], v[122:123], s[4:5], v[152:153]
	v_fma_f64 v[124:125], v[132:133], 2.0, -v[104:105]
	v_fma_f64 v[126:127], v[134:135], 2.0, -v[106:107]
	v_fma_f64 v[128:129], v[130:131], 2.0, -v[116:117]
	v_fma_f64 v[130:131], v[142:143], 2.0, -v[118:119]
	v_fma_f64 v[132:133], v[146:147], 2.0, -v[112:113]
	v_fma_f64 v[134:135], v[148:149], 2.0, -v[114:115]
	v_fma_f64 v[136:137], v[138:139], 2.0, -v[120:121]
	v_fma_f64 v[138:139], v[144:145], 2.0, -v[122:123]
	s_barrier
	ds_write_b128 v255, v[104:107] offset:96
	ds_write_b128 v255, v[124:127] offset:32
	;; [unrolled: 1-line block ×5, first 2 shown]
	ds_write_b128 v255, v[132:135]
	ds_write_b128 v255, v[136:139] offset:16
	ds_write_b128 v255, v[116:119] offset:112
	s_waitcnt lgkmcnt(0)
	s_barrier
	ds_read_b128 v[120:123], v254
	ds_read_b128 v[112:115], v254 offset:528
	ds_read_b128 v[132:135], v254 offset:1408
	;; [unrolled: 1-line block ×5, first 2 shown]
	s_and_saveexec_b64 s[4:5], s[0:1]
	s_cbranch_execz .LBB0_11
; %bb.10:
	ds_read_b128 v[104:107], v141 offset:1056
	ds_read_b128 v[116:119], v254 offset:2464
	;; [unrolled: 1-line block ×3, first 2 shown]
.LBB0_11:
	s_or_b64 exec, exec, s[4:5]
	s_waitcnt lgkmcnt(3)
	v_mul_f64 v[142:143], v[38:39], v[134:135]
	s_waitcnt lgkmcnt(1)
	v_mul_f64 v[144:145], v[34:35], v[138:139]
	v_mul_f64 v[38:39], v[38:39], v[132:133]
	;; [unrolled: 1-line block ×5, first 2 shown]
	s_waitcnt lgkmcnt(0)
	v_mul_f64 v[148:149], v[46:47], v[130:131]
	v_mul_f64 v[46:47], v[46:47], v[128:129]
	v_fma_f64 v[132:133], v[36:37], v[132:133], v[142:143]
	v_fma_f64 v[136:137], v[32:33], v[136:137], v[144:145]
	v_mul_f64 v[144:145], v[58:59], v[110:111]
	v_mul_f64 v[58:59], v[58:59], v[108:109]
	v_fma_f64 v[38:39], v[36:37], v[134:135], -v[38:39]
	v_fma_f64 v[34:35], v[32:33], v[138:139], -v[34:35]
	v_fma_f64 v[124:125], v[52:53], v[124:125], v[146:147]
	v_fma_f64 v[54:55], v[52:53], v[126:127], -v[54:55]
	v_fma_f64 v[126:127], v[44:45], v[128:129], v[148:149]
	v_mul_f64 v[142:143], v[62:63], v[118:119]
	v_mul_f64 v[62:63], v[62:63], v[116:117]
	v_add_f64 v[32:33], v[132:133], v[136:137]
	v_fma_f64 v[128:129], v[44:45], v[130:131], -v[46:47]
	v_fma_f64 v[108:109], v[56:57], v[108:109], v[144:145]
	v_add_f64 v[52:53], v[38:39], v[34:35]
	v_fma_f64 v[110:111], v[56:57], v[110:111], -v[58:59]
	v_add_f64 v[56:57], v[124:125], v[126:127]
	v_add_f64 v[36:37], v[120:121], v[132:133]
	v_fma_f64 v[116:117], v[60:61], v[116:117], v[142:143]
	v_fma_f64 v[62:63], v[60:61], v[118:119], -v[62:63]
	v_fma_f64 v[44:45], v[32:33], -0.5, v[120:121]
	v_add_f64 v[46:47], v[38:39], -v[34:35]
	v_add_f64 v[38:39], v[122:123], v[38:39]
	v_fma_f64 v[52:53], v[52:53], -0.5, v[122:123]
	v_add_f64 v[58:59], v[132:133], -v[136:137]
	v_add_f64 v[60:61], v[112:113], v[124:125]
	v_fma_f64 v[112:113], v[56:57], -0.5, v[112:113]
	v_add_f64 v[118:119], v[54:55], -v[128:129]
	s_mov_b32 s4, 0xe8584caa
	s_mov_b32 s5, 0xbfebb67a
	;; [unrolled: 1-line block ×4, first 2 shown]
	v_add_f64 v[32:33], v[36:37], v[136:137]
	v_fma_f64 v[36:37], v[46:47], s[4:5], v[44:45]
	v_fma_f64 v[44:45], v[46:47], s[12:13], v[44:45]
	v_add_f64 v[34:35], v[38:39], v[34:35]
	v_fma_f64 v[38:39], v[58:59], s[12:13], v[52:53]
	v_add_f64 v[120:121], v[54:55], v[128:129]
	;; [unrolled: 2-line block ×3, first 2 shown]
	v_fma_f64 v[56:57], v[118:119], s[4:5], v[112:113]
	v_fma_f64 v[60:61], v[118:119], s[12:13], v[112:113]
	v_add_f64 v[112:113], v[62:63], v[110:111]
	v_add_f64 v[58:59], v[116:117], v[108:109]
	;; [unrolled: 1-line block ×3, first 2 shown]
	v_fma_f64 v[114:115], v[120:121], -0.5, v[114:115]
	v_add_f64 v[118:119], v[124:125], -v[126:127]
	v_add_f64 v[120:121], v[116:117], v[104:105]
	v_add_f64 v[124:125], v[62:63], v[106:107]
	v_add_f64 v[116:117], v[116:117], -v[108:109]
	v_fma_f64 v[106:107], v[112:113], -0.5, v[106:107]
	v_fma_f64 v[104:105], v[58:59], -0.5, v[104:105]
	v_add_f64 v[122:123], v[62:63], -v[110:111]
	v_fma_f64 v[58:59], v[118:119], s[12:13], v[114:115]
	v_fma_f64 v[62:63], v[118:119], s[4:5], v[114:115]
	v_add_f64 v[114:115], v[110:111], v[124:125]
	s_barrier
	v_fma_f64 v[110:111], v[116:117], s[12:13], v[106:107]
	v_fma_f64 v[106:107], v[116:117], s[4:5], v[106:107]
	buffer_load_dword v116, off, s[48:51], 0 offset:8 ; 4-byte Folded Reload
	v_add_f64 v[54:55], v[54:55], v[128:129]
	v_add_f64 v[112:113], v[120:121], v[108:109]
	v_fma_f64 v[108:109], v[122:123], s[4:5], v[104:105]
	v_fma_f64 v[104:105], v[122:123], s[12:13], v[104:105]
	s_waitcnt vmcnt(0)
	ds_write_b128 v116, v[32:35]
	ds_write_b128 v116, v[36:39] offset:128
	ds_write_b128 v116, v[44:47] offset:256
	ds_write_b128 v156, v[52:55]
	ds_write_b128 v156, v[56:59] offset:128
	ds_write_b128 v156, v[60:63] offset:256
	s_and_saveexec_b64 s[4:5], s[0:1]
	s_cbranch_execz .LBB0_13
; %bb.12:
	buffer_load_dword v116, off, s[48:51], 0 offset:12 ; 4-byte Folded Reload
	buffer_load_dword v117, off, s[48:51], 0 offset:4 ; 4-byte Folded Reload
	s_waitcnt vmcnt(1)
	v_mul_u32_u24_e32 v116, 24, v116
	s_waitcnt vmcnt(0)
	v_or_b32_e32 v116, v116, v117
	buffer_load_dword v117, off, s[48:51], 0 ; 4-byte Folded Reload
	s_waitcnt vmcnt(0)
	v_lshl_add_u32 v116, v116, 4, v117
	ds_write_b128 v116, v[112:115]
	ds_write_b128 v116, v[108:111] offset:128
	ds_write_b128 v116, v[104:107] offset:256
.LBB0_13:
	s_or_b64 exec, exec, s[4:5]
	s_waitcnt lgkmcnt(0)
	s_barrier
	s_and_saveexec_b64 s[0:1], s[2:3]
	s_cbranch_execz .LBB0_15
; %bb.14:
	ds_read_b128 v[32:35], v254
	ds_read_b128 v[36:39], v254 offset:384
	ds_read_b128 v[44:47], v254 offset:768
	;; [unrolled: 1-line block ×10, first 2 shown]
.LBB0_15:
	s_or_b64 exec, exec, s[0:1]
	s_and_saveexec_b64 s[0:1], s[2:3]
	s_cbranch_execz .LBB0_17
; %bb.16:
	s_waitcnt lgkmcnt(5)
	v_mul_f64 v[116:117], v[94:95], v[62:63]
	s_waitcnt lgkmcnt(4)
	v_mul_f64 v[118:119], v[90:91], v[114:115]
	v_mul_f64 v[120:121], v[90:91], v[112:113]
	;; [unrolled: 1-line block ×4, first 2 shown]
	s_waitcnt lgkmcnt(3)
	v_mul_f64 v[124:125], v[86:87], v[110:111]
	s_mov_b32 s20, 0xfd768dbf
	s_mov_b32 s21, 0xbfd207e7
	v_fma_f64 v[90:91], v[92:93], v[60:61], v[116:117]
	v_fma_f64 v[60:61], v[88:89], v[112:113], v[118:119]
	v_mul_f64 v[112:113], v[74:75], v[56:57]
	v_fma_f64 v[74:75], v[88:89], v[114:115], -v[120:121]
	s_waitcnt lgkmcnt(2)
	v_mul_f64 v[114:115], v[82:83], v[106:107]
	v_mul_f64 v[116:117], v[86:87], v[108:109]
	v_fma_f64 v[86:87], v[92:93], v[62:63], -v[94:95]
	v_fma_f64 v[62:63], v[84:85], v[108:109], v[124:125]
	v_mul_f64 v[108:109], v[70:71], v[54:55]
	v_mul_f64 v[70:71], v[70:71], v[52:53]
	v_fma_f64 v[94:95], v[72:73], v[58:59], -v[112:113]
	v_mul_f64 v[118:119], v[50:51], v[36:37]
	v_fma_f64 v[58:59], v[80:81], v[104:105], v[114:115]
	v_mul_f64 v[104:105], v[82:83], v[104:105]
	s_waitcnt lgkmcnt(0)
	v_mul_f64 v[114:115], v[78:79], v[98:99]
	v_mul_f64 v[120:121], v[78:79], v[96:97]
	v_fma_f64 v[108:109], v[68:69], v[52:53], v[108:109]
	v_fma_f64 v[68:69], v[68:69], v[54:55], -v[70:71]
	v_mul_f64 v[70:71], v[42:43], v[46:47]
	v_fma_f64 v[92:93], v[72:73], v[56:57], v[122:123]
	s_mov_b32 s26, 0xf8bb580b
	v_fma_f64 v[54:55], v[80:81], v[106:107], -v[104:105]
	v_mul_f64 v[104:105], v[66:67], v[102:103]
	v_mul_f64 v[106:107], v[50:51], v[38:39]
	v_fma_f64 v[50:51], v[76:77], v[96:97], v[114:115]
	s_mov_b32 s18, 0x9bcd5057
	v_fma_f64 v[78:79], v[40:41], v[44:45], v[70:71]
	s_mov_b32 s27, 0x3fe14ced
	s_mov_b32 s19, 0xbfeeb42a
	v_fma_f64 v[72:73], v[84:85], v[110:111], -v[116:117]
	v_fma_f64 v[70:71], v[64:65], v[100:101], v[104:105]
	v_fma_f64 v[104:105], v[48:49], v[36:37], v[106:107]
	v_mul_f64 v[36:37], v[42:43], v[44:45]
	v_mul_f64 v[44:45], v[66:67], v[100:101]
	v_fma_f64 v[48:49], v[48:49], v[38:39], -v[118:119]
	v_fma_f64 v[42:43], v[76:77], v[98:99], -v[120:121]
	v_add_f64 v[82:83], v[108:109], -v[58:59]
	v_add_f64 v[130:131], v[68:69], -v[54:55]
	;; [unrolled: 1-line block ×4, first 2 shown]
	v_fma_f64 v[118:119], v[40:41], v[46:47], -v[36:37]
	v_fma_f64 v[40:41], v[64:65], v[102:103], -v[44:45]
	v_add_f64 v[126:127], v[50:51], v[104:105]
	v_add_f64 v[120:121], v[48:49], -v[42:43]
	v_add_f64 v[122:123], v[42:43], v[48:49]
	v_add_f64 v[132:133], v[78:79], v[70:71]
	v_mul_f64 v[38:39], v[106:107], s[26:27]
	v_mul_f64 v[36:37], v[114:115], s[20:21]
	s_mov_b32 s14, 0xbb3a28a1
	v_add_f64 v[124:125], v[118:119], -v[40:41]
	v_add_f64 v[128:129], v[118:119], v[40:41]
	v_mul_f64 v[44:45], v[120:121], s[20:21]
	s_mov_b32 s22, 0x8764f0ba
	s_mov_b32 s15, 0xbfe82f19
	;; [unrolled: 1-line block ×3, first 2 shown]
	v_fma_f64 v[46:47], v[122:123], s[18:19], v[36:37]
	v_add_f64 v[84:85], v[92:93], -v[62:63]
	v_mul_f64 v[64:65], v[124:125], s[26:27]
	v_mul_f64 v[116:117], v[82:83], s[14:15]
	v_fma_f64 v[66:67], v[126:127], s[18:19], -v[44:45]
	v_add_f64 v[80:81], v[54:55], v[68:69]
	v_fma_f64 v[76:77], v[128:129], s[22:23], v[38:39]
	v_add_f64 v[134:135], v[94:95], -v[72:73]
	v_add_f64 v[46:47], v[34:35], v[46:47]
	v_add_f64 v[136:137], v[58:59], v[108:109]
	v_mul_f64 v[96:97], v[130:131], s[14:15]
	v_fma_f64 v[98:99], v[132:133], s[22:23], -v[64:65]
	v_add_f64 v[66:67], v[32:33], v[66:67]
	s_mov_b32 s16, 0x7f775887
	s_mov_b32 s5, 0x3fed1bb4
	;; [unrolled: 1-line block ×4, first 2 shown]
	v_mul_f64 v[112:113], v[84:85], s[4:5]
	v_add_f64 v[52:53], v[72:73], v[94:95]
	v_fma_f64 v[100:101], v[80:81], s[16:17], v[116:117]
	v_fma_f64 v[36:37], v[122:123], s[18:19], -v[36:37]
	v_add_f64 v[46:47], v[76:77], v[46:47]
	v_add_f64 v[138:139], v[86:87], -v[74:75]
	v_add_f64 v[142:143], v[62:63], v[92:93]
	v_mul_f64 v[76:77], v[134:135], s[4:5]
	v_fma_f64 v[102:103], v[136:137], s[16:17], -v[96:97]
	v_add_f64 v[66:67], v[98:99], v[66:67]
	s_mov_b32 s2, 0x43842ef
	s_mov_b32 s12, 0xd9c712b6
	;; [unrolled: 1-line block ×4, first 2 shown]
	v_add_f64 v[88:89], v[90:91], -v[60:61]
	v_fma_f64 v[38:39], v[128:129], s[22:23], -v[38:39]
	v_add_f64 v[36:37], v[34:35], v[36:37]
	v_fma_f64 v[98:99], v[52:53], s[12:13], v[112:113]
	v_add_f64 v[46:47], v[100:101], v[46:47]
	v_add_f64 v[144:145], v[90:91], v[60:61]
	v_mul_f64 v[100:101], v[138:139], s[2:3]
	v_fma_f64 v[146:147], v[142:143], s[12:13], -v[76:77]
	v_add_f64 v[66:67], v[102:103], v[66:67]
	s_mov_b32 s24, 0x640f44db
	s_mov_b32 s25, 0xbfc2375f
	v_add_f64 v[56:57], v[86:87], v[74:75]
	v_mul_f64 v[110:111], v[88:89], s[2:3]
	v_fma_f64 v[102:103], v[80:81], s[16:17], -v[116:117]
	v_add_f64 v[36:37], v[38:39], v[36:37]
	v_add_f64 v[46:47], v[98:99], v[46:47]
	v_fma_f64 v[98:99], v[144:145], s[24:25], -v[100:101]
	v_add_f64 v[66:67], v[146:147], v[66:67]
	v_fma_f64 v[112:113], v[52:53], s[12:13], -v[112:113]
	v_fma_f64 v[44:45], v[126:127], s[18:19], v[44:45]
	v_fma_f64 v[38:39], v[56:57], s[24:25], v[110:111]
	s_mov_b32 s31, 0x3fefac9e
	v_add_f64 v[102:103], v[102:103], v[36:37]
	s_mov_b32 s30, s2
	v_fma_f64 v[64:65], v[132:133], s[22:23], v[64:65]
	v_add_f64 v[36:37], v[98:99], v[66:67]
	v_fma_f64 v[98:99], v[144:145], s[24:25], v[100:101]
	v_mul_f64 v[100:101], v[114:115], s[14:15]
	v_add_f64 v[38:39], v[38:39], v[46:47]
	v_fma_f64 v[46:47], v[56:57], s[24:25], -v[110:111]
	v_add_f64 v[66:67], v[112:113], v[102:103]
	v_add_f64 v[44:45], v[32:33], v[44:45]
	v_mul_f64 v[102:103], v[120:121], s[14:15]
	v_mul_f64 v[110:111], v[106:107], s[30:31]
	s_mov_b32 s29, 0xbfe14ced
	v_fma_f64 v[112:113], v[122:123], s[16:17], v[100:101]
	s_mov_b32 s28, s26
	v_fma_f64 v[96:97], v[136:137], s[16:17], v[96:97]
	v_mul_f64 v[146:147], v[82:83], s[28:29]
	v_add_f64 v[44:45], v[64:65], v[44:45]
	v_mul_f64 v[64:65], v[124:125], s[30:31]
	v_fma_f64 v[116:117], v[126:127], s[16:17], -v[102:103]
	v_fma_f64 v[148:149], v[128:129], s[24:25], v[110:111]
	v_add_f64 v[112:113], v[34:35], v[112:113]
	v_mul_f64 v[150:151], v[130:131], s[28:29]
	v_fma_f64 v[100:101], v[122:123], s[16:17], -v[100:101]
	v_fma_f64 v[154:155], v[80:81], s[22:23], v[146:147]
	v_add_f64 v[44:45], v[96:97], v[44:45]
	v_fma_f64 v[152:153], v[132:133], s[24:25], -v[64:65]
	v_add_f64 v[116:117], v[32:33], v[116:117]
	v_mul_f64 v[96:97], v[84:85], s[20:21]
	v_add_f64 v[112:113], v[148:149], v[112:113]
	v_fma_f64 v[76:77], v[142:143], s[12:13], v[76:77]
	v_mul_f64 v[148:149], v[134:135], s[20:21]
	v_fma_f64 v[156:157], v[136:137], s[22:23], -v[150:151]
	v_fma_f64 v[110:111], v[128:129], s[24:25], -v[110:111]
	v_add_f64 v[100:101], v[34:35], v[100:101]
	v_add_f64 v[116:117], v[152:153], v[116:117]
	v_mul_f64 v[152:153], v[88:89], s[4:5]
	v_fma_f64 v[158:159], v[52:53], s[18:19], v[96:97]
	v_add_f64 v[112:113], v[154:155], v[112:113]
	v_mul_f64 v[154:155], v[138:139], s[4:5]
	v_fma_f64 v[160:161], v[142:143], s[18:19], -v[148:149]
	v_add_f64 v[44:45], v[76:77], v[44:45]
	v_fma_f64 v[76:77], v[80:81], s[22:23], -v[146:147]
	v_add_f64 v[116:117], v[156:157], v[116:117]
	v_add_f64 v[100:101], v[110:111], v[100:101]
	v_fma_f64 v[110:111], v[56:57], s[12:13], v[152:153]
	v_add_f64 v[112:113], v[158:159], v[112:113]
	v_fma_f64 v[102:103], v[126:127], s[16:17], v[102:103]
	v_fma_f64 v[146:147], v[144:145], s[12:13], -v[154:155]
	v_add_f64 v[46:47], v[46:47], v[66:67]
	v_fma_f64 v[96:97], v[52:53], s[18:19], -v[96:97]
	v_add_f64 v[116:117], v[160:161], v[116:117]
	v_add_f64 v[76:77], v[76:77], v[100:101]
	;; [unrolled: 1-line block ×3, first 2 shown]
	v_fma_f64 v[98:99], v[132:133], s[24:25], v[64:65]
	v_add_f64 v[100:101], v[32:33], v[102:103]
	v_add_f64 v[66:67], v[110:111], v[112:113]
	v_mul_f64 v[110:111], v[114:115], s[2:3]
	s_mov_b32 s35, 0x3fd207e7
	s_mov_b32 s34, s20
	v_add_f64 v[64:65], v[146:147], v[116:117]
	v_add_f64 v[76:77], v[96:97], v[76:77]
	v_fma_f64 v[96:97], v[136:137], s[22:23], v[150:151]
	v_mul_f64 v[112:113], v[120:121], s[2:3]
	v_add_f64 v[98:99], v[98:99], v[100:101]
	v_mul_f64 v[100:101], v[106:107], s[34:35]
	v_fma_f64 v[116:117], v[122:123], s[24:25], v[110:111]
	v_fma_f64 v[102:103], v[56:57], s[12:13], -v[152:153]
	v_fma_f64 v[146:147], v[142:143], s[18:19], v[148:149]
	v_mul_f64 v[148:149], v[124:125], s[34:35]
	v_mul_f64 v[156:157], v[130:131], s[4:5]
	v_fma_f64 v[150:151], v[126:127], s[24:25], -v[112:113]
	v_add_f64 v[96:97], v[96:97], v[98:99]
	v_fma_f64 v[98:99], v[122:123], s[24:25], -v[110:111]
	v_mul_f64 v[110:111], v[82:83], s[4:5]
	v_fma_f64 v[152:153], v[128:129], s[18:19], v[100:101]
	v_add_f64 v[116:117], v[34:35], v[116:117]
	v_fma_f64 v[158:159], v[132:133], s[18:19], -v[148:149]
	v_fma_f64 v[100:101], v[128:129], s[18:19], -v[100:101]
	v_add_f64 v[150:151], v[32:33], v[150:151]
	v_mul_f64 v[160:161], v[84:85], s[28:29]
	v_add_f64 v[98:99], v[34:35], v[98:99]
	v_fma_f64 v[162:163], v[80:81], s[12:13], v[110:111]
	v_fma_f64 v[164:165], v[136:137], s[12:13], -v[156:157]
	v_add_f64 v[116:117], v[152:153], v[116:117]
	v_mul_f64 v[152:153], v[134:135], s[28:29]
	v_fma_f64 v[110:111], v[80:81], s[12:13], -v[110:111]
	v_add_f64 v[150:151], v[158:159], v[150:151]
	v_fma_f64 v[158:159], v[52:53], s[22:23], v[160:161]
	v_add_f64 v[98:99], v[100:101], v[98:99]
	v_mul_f64 v[100:101], v[88:89], s[14:15]
	v_fma_f64 v[160:161], v[52:53], s[22:23], -v[160:161]
	v_add_f64 v[116:117], v[162:163], v[116:117]
	v_mul_f64 v[162:163], v[138:139], s[14:15]
	v_fma_f64 v[166:167], v[142:143], s[22:23], -v[152:153]
	v_add_f64 v[150:151], v[164:165], v[150:151]
	v_add_f64 v[96:97], v[146:147], v[96:97]
	;; [unrolled: 1-line block ×3, first 2 shown]
	v_fma_f64 v[110:111], v[144:145], s[12:13], v[154:155]
	v_fma_f64 v[146:147], v[56:57], s[16:17], v[100:101]
	v_add_f64 v[116:117], v[158:159], v[116:117]
	s_mov_b32 s5, 0xbfed1bb4
	v_fma_f64 v[154:155], v[144:145], s[16:17], -v[162:163]
	v_add_f64 v[150:151], v[166:167], v[150:151]
	v_fma_f64 v[158:159], v[56:57], s[16:17], -v[100:101]
	v_add_f64 v[160:161], v[160:161], v[98:99]
	v_add_f64 v[98:99], v[102:103], v[76:77]
	;; [unrolled: 1-line block ×3, first 2 shown]
	v_mul_f64 v[110:111], v[114:115], s[4:5]
	v_fma_f64 v[112:113], v[126:127], s[24:25], v[112:113]
	v_add_f64 v[102:103], v[146:147], v[116:117]
	v_mul_f64 v[116:117], v[120:121], s[4:5]
	v_add_f64 v[100:101], v[154:155], v[150:151]
	v_add_f64 v[76:77], v[158:159], v[160:161]
	v_fma_f64 v[146:147], v[132:133], s[18:19], v[148:149]
	v_mul_f64 v[148:149], v[106:107], s[14:15]
	v_fma_f64 v[150:151], v[122:123], s[12:13], v[110:111]
	v_add_f64 v[112:113], v[32:33], v[112:113]
	v_mul_f64 v[158:159], v[124:125], s[14:15]
	v_fma_f64 v[160:161], v[126:127], s[12:13], -v[116:117]
	v_fma_f64 v[110:111], v[122:123], s[12:13], -v[110:111]
	v_add_f64 v[48:49], v[34:35], v[48:49]
	v_add_f64 v[104:105], v[32:33], v[104:105]
	v_fma_f64 v[154:155], v[144:145], s[16:17], v[162:163]
	v_fma_f64 v[156:157], v[136:137], s[12:13], v[156:157]
	v_mul_f64 v[162:163], v[82:83], s[34:35]
	v_fma_f64 v[164:165], v[128:129], s[16:17], v[148:149]
	v_add_f64 v[112:113], v[146:147], v[112:113]
	v_fma_f64 v[166:167], v[132:133], s[16:17], -v[158:159]
	v_add_f64 v[160:161], v[32:33], v[160:161]
	v_fma_f64 v[148:149], v[128:129], s[16:17], -v[148:149]
	v_add_f64 v[110:111], v[34:35], v[110:111]
	v_add_f64 v[48:49], v[118:119], v[48:49]
	;; [unrolled: 1-line block ×3, first 2 shown]
	v_fma_f64 v[146:147], v[142:143], s[22:23], v[152:153]
	v_fma_f64 v[170:171], v[80:81], s[18:19], v[162:163]
	v_add_f64 v[112:113], v[156:157], v[112:113]
	v_add_f64 v[160:161], v[166:167], v[160:161]
	v_mul_f64 v[166:167], v[88:89], s[26:27]
	v_fma_f64 v[162:163], v[80:81], s[18:19], -v[162:163]
	v_add_f64 v[110:111], v[148:149], v[110:111]
	v_mul_f64 v[114:115], v[114:115], s[28:29]
	v_add_f64 v[48:49], v[68:69], v[48:49]
	v_add_f64 v[68:69], v[108:109], v[78:79]
	;; [unrolled: 1-line block ×3, first 2 shown]
	v_fma_f64 v[116:117], v[126:127], s[12:13], v[116:117]
	v_fma_f64 v[146:147], v[56:57], s[22:23], v[166:167]
	v_mul_f64 v[106:107], v[106:107], s[4:5]
	v_add_f64 v[110:111], v[162:163], v[110:111]
	v_fma_f64 v[162:163], v[56:57], s[22:23], -v[166:167]
	v_fma_f64 v[166:167], v[122:123], s[22:23], v[114:115]
	v_add_f64 v[48:49], v[94:95], v[48:49]
	v_add_f64 v[68:69], v[92:93], v[68:69]
	;; [unrolled: 1-line block ×3, first 2 shown]
	v_mul_f64 v[152:153], v[130:131], s[34:35]
	v_fma_f64 v[158:159], v[132:133], s[16:17], v[158:159]
	v_add_f64 v[116:117], v[32:33], v[116:117]
	v_fma_f64 v[104:105], v[128:129], s[12:13], v[106:107]
	v_add_f64 v[118:119], v[34:35], v[166:167]
	v_mul_f64 v[92:93], v[120:121], s[28:29]
	v_add_f64 v[48:49], v[86:87], v[48:49]
	v_add_f64 v[68:69], v[90:91], v[68:69]
	v_mul_f64 v[168:169], v[84:85], s[30:31]
	v_add_f64 v[150:151], v[164:165], v[150:151]
	v_fma_f64 v[164:165], v[136:137], s[18:19], -v[152:153]
	v_add_f64 v[116:117], v[158:159], v[116:117]
	v_mul_f64 v[158:159], v[82:83], s[2:3]
	v_add_f64 v[104:105], v[104:105], v[118:119]
	v_fma_f64 v[114:115], v[122:123], s[22:23], -v[114:115]
	v_mul_f64 v[118:119], v[124:125], s[4:5]
	v_fma_f64 v[86:87], v[126:127], s[22:23], v[92:93]
	v_fma_f64 v[92:93], v[126:127], s[22:23], -v[92:93]
	v_add_f64 v[48:49], v[74:75], v[48:49]
	v_add_f64 v[60:61], v[60:61], v[68:69]
	v_mul_f64 v[156:157], v[134:135], s[30:31]
	v_add_f64 v[160:161], v[164:165], v[160:161]
	v_fma_f64 v[164:165], v[52:53], s[24:25], -v[168:169]
	v_fma_f64 v[152:153], v[136:137], s[18:19], v[152:153]
	v_fma_f64 v[78:79], v[80:81], s[24:25], v[158:159]
	v_mul_f64 v[90:91], v[130:131], s[2:3]
	v_fma_f64 v[106:107], v[128:129], s[12:13], -v[106:107]
	v_add_f64 v[34:35], v[34:35], v[114:115]
	v_fma_f64 v[114:115], v[132:133], s[12:13], v[118:119]
	v_add_f64 v[68:69], v[32:33], v[86:87]
	v_fma_f64 v[74:75], v[132:133], s[12:13], -v[118:119]
	v_add_f64 v[32:33], v[32:33], v[92:93]
	v_add_f64 v[48:49], v[72:73], v[48:49]
	;; [unrolled: 1-line block ×3, first 2 shown]
	v_fma_f64 v[174:175], v[142:143], s[24:25], -v[156:157]
	v_add_f64 v[110:111], v[164:165], v[110:111]
	v_fma_f64 v[156:157], v[142:143], s[24:25], v[156:157]
	v_add_f64 v[116:117], v[152:153], v[116:117]
	v_mul_f64 v[84:85], v[84:85], s[14:15]
	v_add_f64 v[78:79], v[78:79], v[104:105]
	v_mul_f64 v[104:105], v[134:135], s[14:15]
	v_fma_f64 v[80:81], v[80:81], s[24:25], -v[158:159]
	v_add_f64 v[34:35], v[106:107], v[34:35]
	v_fma_f64 v[86:87], v[136:137], s[24:25], v[90:91]
	v_add_f64 v[62:63], v[114:115], v[68:69]
	v_fma_f64 v[68:69], v[136:137], s[24:25], -v[90:91]
	v_add_f64 v[32:33], v[74:75], v[32:33]
	v_add_f64 v[48:49], v[54:55], v[48:49]
	;; [unrolled: 1-line block ×3, first 2 shown]
	v_fma_f64 v[172:173], v[52:53], s[24:25], v[168:169]
	v_add_f64 v[82:83], v[162:163], v[110:111]
	v_add_f64 v[110:111], v[156:157], v[116:117]
	v_mul_f64 v[88:89], v[88:89], s[20:21]
	v_fma_f64 v[116:117], v[52:53], s[16:17], v[84:85]
	v_mul_f64 v[94:95], v[138:139], s[20:21]
	v_fma_f64 v[52:53], v[52:53], s[16:17], -v[84:85]
	v_add_f64 v[34:35], v[80:81], v[34:35]
	v_fma_f64 v[72:73], v[142:143], s[16:17], v[104:105]
	v_add_f64 v[58:59], v[86:87], v[62:63]
	v_add_f64 v[150:151], v[170:171], v[150:151]
	v_mul_f64 v[170:171], v[138:139], s[26:27]
	v_fma_f64 v[60:61], v[142:143], s[16:17], -v[104:105]
	v_add_f64 v[32:33], v[68:69], v[32:33]
	v_add_f64 v[40:41], v[40:41], v[48:49]
	;; [unrolled: 1-line block ×3, first 2 shown]
	v_fma_f64 v[62:63], v[56:57], s[18:19], -v[88:89]
	v_add_f64 v[34:35], v[52:53], v[34:35]
	v_fma_f64 v[52:53], v[144:145], s[18:19], v[94:95]
	v_add_f64 v[54:55], v[72:73], v[58:59]
	v_fma_f64 v[108:109], v[144:145], s[22:23], v[170:171]
	v_add_f64 v[148:149], v[172:173], v[150:151]
	v_fma_f64 v[150:151], v[144:145], s[22:23], -v[170:171]
	v_add_f64 v[160:161], v[174:175], v[160:161]
	v_fma_f64 v[56:57], v[56:57], s[18:19], v[88:89]
	v_add_f64 v[58:59], v[116:117], v[78:79]
	v_fma_f64 v[68:69], v[144:145], s[18:19], -v[94:95]
	v_add_f64 v[60:61], v[60:61], v[32:33]
	v_add_f64 v[42:43], v[42:43], v[40:41]
	;; [unrolled: 1-line block ×11, first 2 shown]
	ds_write_b128 v254, v[40:43]
	ds_write_b128 v141, v[32:35] offset:384
	ds_write_b128 v141, v[80:83] offset:768
	;; [unrolled: 1-line block ×10, first 2 shown]
.LBB0_17:
	s_or_b64 exec, exec, s[0:1]
	s_waitcnt lgkmcnt(0)
	s_barrier
	ds_read_b128 v[32:35], v254
	ds_read_b128 v[36:39], v254 offset:528
	v_mad_u64_u32 v[40:41], s[0:1], s10, v140, 0
	s_mul_i32 s2, s9, 0x210
	s_waitcnt lgkmcnt(1)
	v_mul_f64 v[42:43], v[30:31], v[34:35]
	v_mul_f64 v[30:31], v[30:31], v[32:33]
	s_mul_hi_u32 s3, s8, 0x210
	s_add_i32 s2, s3, s2
	s_mul_i32 s3, s8, 0x210
	v_mad_u64_u32 v[44:45], s[0:1], s11, v140, v[41:42]
	v_mad_u64_u32 v[45:46], s[0:1], s8, v253, 0
	v_fma_f64 v[32:33], v[28:29], v[32:33], v[42:43]
	v_fma_f64 v[30:31], v[28:29], v[34:35], -v[30:31]
	v_mov_b32_e32 v28, v46
	v_mad_u64_u32 v[34:35], s[0:1], s9, v253, v[28:29]
	s_mov_b32 s0, 0xf07c1f08
	s_mov_b32 s1, 0x3f6f07c1
	v_mov_b32_e32 v46, v34
	s_waitcnt lgkmcnt(0)
	v_mul_f64 v[34:35], v[26:27], v[38:39]
	v_mul_f64 v[26:27], v[26:27], v[36:37]
	v_mov_b32_e32 v41, v44
	v_mul_f64 v[28:29], v[32:33], s[0:1]
	v_mul_f64 v[30:31], v[30:31], s[0:1]
	v_lshlrev_b64 v[32:33], 4, v[40:41]
	v_mov_b32_e32 v40, s7
	v_add_co_u32_e32 v41, vcc, s6, v32
	v_fma_f64 v[34:35], v[24:25], v[36:37], v[34:35]
	v_fma_f64 v[36:37], v[24:25], v[38:39], -v[26:27]
	ds_read_b128 v[24:27], v141 offset:1056
	v_addc_co_u32_e32 v42, vcc, v40, v33, vcc
	v_lshlrev_b64 v[32:33], 4, v[45:46]
	v_mov_b32_e32 v44, s2
	v_add_co_u32_e32 v40, vcc, v41, v32
	v_addc_co_u32_e32 v41, vcc, v42, v33, vcc
	global_store_dwordx4 v[40:41], v[28:31], off
	v_add_co_u32_e32 v40, vcc, s3, v40
	v_mul_f64 v[30:31], v[36:37], s[0:1]
	ds_read_b128 v[36:39], v254 offset:1584
	s_waitcnt lgkmcnt(1)
	v_mul_f64 v[42:43], v[2:3], v[26:27]
	v_mul_f64 v[2:3], v[2:3], v[24:25]
	;; [unrolled: 1-line block ×3, first 2 shown]
	v_addc_co_u32_e32 v41, vcc, v41, v44, vcc
	ds_read_b128 v[32:35], v254 offset:3696
	v_fma_f64 v[24:25], v[0:1], v[24:25], v[42:43]
	v_fma_f64 v[26:27], v[0:1], v[26:27], -v[2:3]
	s_waitcnt lgkmcnt(1)
	v_mul_f64 v[42:43], v[6:7], v[38:39]
	v_mul_f64 v[6:7], v[6:7], v[36:37]
	ds_read_b128 v[0:3], v254 offset:2112
	global_store_dwordx4 v[40:41], v[28:31], off
	v_mul_f64 v[24:25], v[24:25], s[0:1]
	v_mul_f64 v[26:27], v[26:27], s[0:1]
	v_fma_f64 v[28:29], v[4:5], v[36:37], v[42:43]
	v_add_co_u32_e32 v36, vcc, s3, v40
	v_addc_co_u32_e32 v37, vcc, v41, v44, vcc
	v_fma_f64 v[6:7], v[4:5], v[38:39], -v[6:7]
	v_mov_b32_e32 v38, s2
	global_store_dwordx4 v[36:37], v[24:27], off
	ds_read_b128 v[24:27], v254 offset:2640
	s_waitcnt lgkmcnt(1)
	v_mul_f64 v[30:31], v[14:15], v[2:3]
	v_mul_f64 v[14:15], v[14:15], v[0:1]
	;; [unrolled: 1-line block ×4, first 2 shown]
	v_fma_f64 v[28:29], v[12:13], v[0:1], v[30:31]
	v_fma_f64 v[12:13], v[12:13], v[2:3], -v[14:15]
	s_waitcnt lgkmcnt(0)
	v_mul_f64 v[14:15], v[10:11], v[26:27]
	v_mul_f64 v[10:11], v[10:11], v[24:25]
	ds_read_b128 v[0:3], v254 offset:3168
	v_add_co_u32_e32 v30, vcc, s3, v36
	v_addc_co_u32_e32 v31, vcc, v37, v38, vcc
	global_store_dwordx4 v[30:31], v[4:7], off
	s_nop 0
	v_mul_f64 v[6:7], v[12:13], s[0:1]
	v_fma_f64 v[12:13], v[8:9], v[24:25], v[14:15]
	s_waitcnt lgkmcnt(0)
	v_mul_f64 v[14:15], v[18:19], v[2:3]
	v_mul_f64 v[18:19], v[18:19], v[0:1]
	;; [unrolled: 1-line block ×3, first 2 shown]
	v_fma_f64 v[8:9], v[8:9], v[26:27], -v[10:11]
	v_mul_f64 v[24:25], v[22:23], v[34:35]
	v_mul_f64 v[22:23], v[22:23], v[32:33]
	v_mov_b32_e32 v28, s2
	v_add_co_u32_e32 v10, vcc, s3, v30
	v_fma_f64 v[0:1], v[16:17], v[0:1], v[14:15]
	v_fma_f64 v[2:3], v[16:17], v[2:3], -v[18:19]
	v_addc_co_u32_e32 v11, vcc, v31, v28, vcc
	global_store_dwordx4 v[10:11], v[4:7], off
	v_mov_b32_e32 v26, s2
	v_mul_f64 v[4:5], v[12:13], s[0:1]
	v_mul_f64 v[6:7], v[8:9], s[0:1]
	v_fma_f64 v[8:9], v[20:21], v[32:33], v[24:25]
	v_fma_f64 v[12:13], v[20:21], v[34:35], -v[22:23]
	v_add_co_u32_e32 v10, vcc, s3, v10
	v_mul_f64 v[0:1], v[0:1], s[0:1]
	v_mul_f64 v[2:3], v[2:3], s[0:1]
	v_addc_co_u32_e32 v11, vcc, v11, v26, vcc
	global_store_dwordx4 v[10:11], v[4:7], off
	v_mov_b32_e32 v14, s2
	v_mul_f64 v[4:5], v[8:9], s[0:1]
	v_mul_f64 v[6:7], v[12:13], s[0:1]
	v_add_co_u32_e32 v8, vcc, s3, v10
	v_addc_co_u32_e32 v9, vcc, v11, v14, vcc
	global_store_dwordx4 v[8:9], v[0:3], off
	s_nop 0
	v_mov_b32_e32 v1, s2
	v_add_co_u32_e32 v0, vcc, s3, v8
	v_addc_co_u32_e32 v1, vcc, v9, v1, vcc
	global_store_dwordx4 v[0:1], v[4:7], off
.LBB0_18:
	s_endpgm
	.section	.rodata,"a",@progbits
	.p2align	6, 0x0
	.amdhsa_kernel bluestein_single_back_len264_dim1_dp_op_CI_CI
		.amdhsa_group_segment_fixed_size 29568
		.amdhsa_private_segment_fixed_size 380
		.amdhsa_kernarg_size 104
		.amdhsa_user_sgpr_count 6
		.amdhsa_user_sgpr_private_segment_buffer 1
		.amdhsa_user_sgpr_dispatch_ptr 0
		.amdhsa_user_sgpr_queue_ptr 0
		.amdhsa_user_sgpr_kernarg_segment_ptr 1
		.amdhsa_user_sgpr_dispatch_id 0
		.amdhsa_user_sgpr_flat_scratch_init 0
		.amdhsa_user_sgpr_private_segment_size 0
		.amdhsa_uses_dynamic_stack 0
		.amdhsa_system_sgpr_private_segment_wavefront_offset 1
		.amdhsa_system_sgpr_workgroup_id_x 1
		.amdhsa_system_sgpr_workgroup_id_y 0
		.amdhsa_system_sgpr_workgroup_id_z 0
		.amdhsa_system_sgpr_workgroup_info 0
		.amdhsa_system_vgpr_workitem_id 0
		.amdhsa_next_free_vgpr 256
		.amdhsa_next_free_sgpr 52
		.amdhsa_reserve_vcc 1
		.amdhsa_reserve_flat_scratch 0
		.amdhsa_float_round_mode_32 0
		.amdhsa_float_round_mode_16_64 0
		.amdhsa_float_denorm_mode_32 3
		.amdhsa_float_denorm_mode_16_64 3
		.amdhsa_dx10_clamp 1
		.amdhsa_ieee_mode 1
		.amdhsa_fp16_overflow 0
		.amdhsa_exception_fp_ieee_invalid_op 0
		.amdhsa_exception_fp_denorm_src 0
		.amdhsa_exception_fp_ieee_div_zero 0
		.amdhsa_exception_fp_ieee_overflow 0
		.amdhsa_exception_fp_ieee_underflow 0
		.amdhsa_exception_fp_ieee_inexact 0
		.amdhsa_exception_int_div_zero 0
	.end_amdhsa_kernel
	.text
.Lfunc_end0:
	.size	bluestein_single_back_len264_dim1_dp_op_CI_CI, .Lfunc_end0-bluestein_single_back_len264_dim1_dp_op_CI_CI
                                        ; -- End function
	.section	.AMDGPU.csdata,"",@progbits
; Kernel info:
; codeLenInByte = 13456
; NumSgprs: 56
; NumVgprs: 256
; ScratchSize: 380
; MemoryBound: 0
; FloatMode: 240
; IeeeMode: 1
; LDSByteSize: 29568 bytes/workgroup (compile time only)
; SGPRBlocks: 6
; VGPRBlocks: 63
; NumSGPRsForWavesPerEU: 56
; NumVGPRsForWavesPerEU: 256
; Occupancy: 1
; WaveLimiterHint : 1
; COMPUTE_PGM_RSRC2:SCRATCH_EN: 1
; COMPUTE_PGM_RSRC2:USER_SGPR: 6
; COMPUTE_PGM_RSRC2:TRAP_HANDLER: 0
; COMPUTE_PGM_RSRC2:TGID_X_EN: 1
; COMPUTE_PGM_RSRC2:TGID_Y_EN: 0
; COMPUTE_PGM_RSRC2:TGID_Z_EN: 0
; COMPUTE_PGM_RSRC2:TIDIG_COMP_CNT: 0
	.type	__hip_cuid_e7e03b2199e137a,@object ; @__hip_cuid_e7e03b2199e137a
	.section	.bss,"aw",@nobits
	.globl	__hip_cuid_e7e03b2199e137a
__hip_cuid_e7e03b2199e137a:
	.byte	0                               ; 0x0
	.size	__hip_cuid_e7e03b2199e137a, 1

	.ident	"AMD clang version 19.0.0git (https://github.com/RadeonOpenCompute/llvm-project roc-6.4.0 25133 c7fe45cf4b819c5991fe208aaa96edf142730f1d)"
	.section	".note.GNU-stack","",@progbits
	.addrsig
	.addrsig_sym __hip_cuid_e7e03b2199e137a
	.amdgpu_metadata
---
amdhsa.kernels:
  - .args:
      - .actual_access:  read_only
        .address_space:  global
        .offset:         0
        .size:           8
        .value_kind:     global_buffer
      - .actual_access:  read_only
        .address_space:  global
        .offset:         8
        .size:           8
        .value_kind:     global_buffer
      - .actual_access:  read_only
        .address_space:  global
        .offset:         16
        .size:           8
        .value_kind:     global_buffer
      - .actual_access:  read_only
        .address_space:  global
        .offset:         24
        .size:           8
        .value_kind:     global_buffer
      - .actual_access:  read_only
        .address_space:  global
        .offset:         32
        .size:           8
        .value_kind:     global_buffer
      - .offset:         40
        .size:           8
        .value_kind:     by_value
      - .address_space:  global
        .offset:         48
        .size:           8
        .value_kind:     global_buffer
      - .address_space:  global
        .offset:         56
        .size:           8
        .value_kind:     global_buffer
      - .address_space:  global
        .offset:         64
        .size:           8
        .value_kind:     global_buffer
      - .address_space:  global
        .offset:         72
        .size:           8
        .value_kind:     global_buffer
      - .offset:         80
        .size:           4
        .value_kind:     by_value
      - .address_space:  global
        .offset:         88
        .size:           8
        .value_kind:     global_buffer
      - .address_space:  global
        .offset:         96
        .size:           8
        .value_kind:     global_buffer
    .group_segment_fixed_size: 29568
    .kernarg_segment_align: 8
    .kernarg_segment_size: 104
    .language:       OpenCL C
    .language_version:
      - 2
      - 0
    .max_flat_workgroup_size: 231
    .name:           bluestein_single_back_len264_dim1_dp_op_CI_CI
    .private_segment_fixed_size: 380
    .sgpr_count:     56
    .sgpr_spill_count: 0
    .symbol:         bluestein_single_back_len264_dim1_dp_op_CI_CI.kd
    .uniform_work_group_size: 1
    .uses_dynamic_stack: false
    .vgpr_count:     256
    .vgpr_spill_count: 94
    .wavefront_size: 64
amdhsa.target:   amdgcn-amd-amdhsa--gfx906
amdhsa.version:
  - 1
  - 2
...

	.end_amdgpu_metadata
